;; amdgpu-corpus repo=ROCm/rocFFT kind=compiled arch=gfx906 opt=O3
	.text
	.amdgcn_target "amdgcn-amd-amdhsa--gfx906"
	.amdhsa_code_object_version 6
	.protected	fft_rtc_fwd_len1309_factors_17_7_11_wgs_119_tpt_119_halfLds_sp_op_CI_CI_unitstride_sbrr_dirReg ; -- Begin function fft_rtc_fwd_len1309_factors_17_7_11_wgs_119_tpt_119_halfLds_sp_op_CI_CI_unitstride_sbrr_dirReg
	.globl	fft_rtc_fwd_len1309_factors_17_7_11_wgs_119_tpt_119_halfLds_sp_op_CI_CI_unitstride_sbrr_dirReg
	.p2align	8
	.type	fft_rtc_fwd_len1309_factors_17_7_11_wgs_119_tpt_119_halfLds_sp_op_CI_CI_unitstride_sbrr_dirReg,@function
fft_rtc_fwd_len1309_factors_17_7_11_wgs_119_tpt_119_halfLds_sp_op_CI_CI_unitstride_sbrr_dirReg: ; @fft_rtc_fwd_len1309_factors_17_7_11_wgs_119_tpt_119_halfLds_sp_op_CI_CI_unitstride_sbrr_dirReg
; %bb.0:
	s_load_dwordx4 s[8:11], s[4:5], 0x58
	s_load_dwordx4 s[12:15], s[4:5], 0x0
	;; [unrolled: 1-line block ×3, first 2 shown]
	v_mul_u32_u24_e32 v1, 0x227, v0
	v_mov_b32_e32 v3, 0
	v_mov_b32_e32 v23, 0
	s_waitcnt lgkmcnt(0)
	v_cmp_lt_u64_e64 s[0:1], s[14:15], 2
	v_add_u32_sdwa v6, s6, v1 dst_sel:DWORD dst_unused:UNUSED_PAD src0_sel:DWORD src1_sel:WORD_1
	v_mov_b32_e32 v7, v3
	s_and_b64 vcc, exec, s[0:1]
	v_mov_b32_e32 v24, 0
	s_cbranch_vccnz .LBB0_8
; %bb.1:
	s_load_dwordx2 s[0:1], s[4:5], 0x10
	s_add_u32 s2, s18, 8
	s_addc_u32 s3, s19, 0
	s_add_u32 s6, s16, 8
	s_addc_u32 s7, s17, 0
	v_mov_b32_e32 v23, 0
	s_waitcnt lgkmcnt(0)
	s_add_u32 s20, s0, 8
	v_mov_b32_e32 v24, 0
	v_mov_b32_e32 v1, v23
	s_addc_u32 s21, s1, 0
	s_mov_b64 s[22:23], 1
	v_mov_b32_e32 v2, v24
.LBB0_2:                                ; =>This Inner Loop Header: Depth=1
	s_load_dwordx2 s[24:25], s[20:21], 0x0
	s_waitcnt lgkmcnt(0)
	v_or_b32_e32 v4, s25, v7
	v_cmp_ne_u64_e32 vcc, 0, v[3:4]
                                        ; implicit-def: $vgpr4_vgpr5
	s_and_saveexec_b64 s[0:1], vcc
	s_xor_b64 s[26:27], exec, s[0:1]
	s_cbranch_execz .LBB0_4
; %bb.3:                                ;   in Loop: Header=BB0_2 Depth=1
	v_cvt_f32_u32_e32 v4, s24
	v_cvt_f32_u32_e32 v5, s25
	s_sub_u32 s0, 0, s24
	s_subb_u32 s1, 0, s25
	v_mac_f32_e32 v4, 0x4f800000, v5
	v_rcp_f32_e32 v4, v4
	v_mul_f32_e32 v4, 0x5f7ffffc, v4
	v_mul_f32_e32 v5, 0x2f800000, v4
	v_trunc_f32_e32 v5, v5
	v_mac_f32_e32 v4, 0xcf800000, v5
	v_cvt_u32_f32_e32 v5, v5
	v_cvt_u32_f32_e32 v4, v4
	v_mul_lo_u32 v8, s0, v5
	v_mul_hi_u32 v9, s0, v4
	v_mul_lo_u32 v11, s1, v4
	v_mul_lo_u32 v10, s0, v4
	v_add_u32_e32 v8, v9, v8
	v_add_u32_e32 v8, v8, v11
	v_mul_hi_u32 v9, v4, v10
	v_mul_lo_u32 v11, v4, v8
	v_mul_hi_u32 v13, v4, v8
	v_mul_hi_u32 v12, v5, v10
	v_mul_lo_u32 v10, v5, v10
	v_mul_hi_u32 v14, v5, v8
	v_add_co_u32_e32 v9, vcc, v9, v11
	v_addc_co_u32_e32 v11, vcc, 0, v13, vcc
	v_mul_lo_u32 v8, v5, v8
	v_add_co_u32_e32 v9, vcc, v9, v10
	v_addc_co_u32_e32 v9, vcc, v11, v12, vcc
	v_addc_co_u32_e32 v10, vcc, 0, v14, vcc
	v_add_co_u32_e32 v8, vcc, v9, v8
	v_addc_co_u32_e32 v9, vcc, 0, v10, vcc
	v_add_co_u32_e32 v4, vcc, v4, v8
	v_addc_co_u32_e32 v5, vcc, v5, v9, vcc
	v_mul_lo_u32 v8, s0, v5
	v_mul_hi_u32 v9, s0, v4
	v_mul_lo_u32 v10, s1, v4
	v_mul_lo_u32 v11, s0, v4
	v_add_u32_e32 v8, v9, v8
	v_add_u32_e32 v8, v8, v10
	v_mul_lo_u32 v12, v4, v8
	v_mul_hi_u32 v13, v4, v11
	v_mul_hi_u32 v14, v4, v8
	v_mul_hi_u32 v10, v5, v11
	v_mul_lo_u32 v11, v5, v11
	v_mul_hi_u32 v9, v5, v8
	v_add_co_u32_e32 v12, vcc, v13, v12
	v_addc_co_u32_e32 v13, vcc, 0, v14, vcc
	v_mul_lo_u32 v8, v5, v8
	v_add_co_u32_e32 v11, vcc, v12, v11
	v_addc_co_u32_e32 v10, vcc, v13, v10, vcc
	v_addc_co_u32_e32 v9, vcc, 0, v9, vcc
	v_add_co_u32_e32 v8, vcc, v10, v8
	v_addc_co_u32_e32 v9, vcc, 0, v9, vcc
	v_add_co_u32_e32 v8, vcc, v4, v8
	v_addc_co_u32_e32 v9, vcc, v5, v9, vcc
	v_mad_u64_u32 v[4:5], s[0:1], v6, v9, 0
	v_mul_hi_u32 v10, v6, v8
	v_add_co_u32_e32 v10, vcc, v10, v4
	v_addc_co_u32_e32 v11, vcc, 0, v5, vcc
	v_mad_u64_u32 v[4:5], s[0:1], v7, v8, 0
	v_mad_u64_u32 v[8:9], s[0:1], v7, v9, 0
	v_add_co_u32_e32 v4, vcc, v10, v4
	v_addc_co_u32_e32 v4, vcc, v11, v5, vcc
	v_addc_co_u32_e32 v5, vcc, 0, v9, vcc
	v_add_co_u32_e32 v8, vcc, v4, v8
	v_addc_co_u32_e32 v9, vcc, 0, v5, vcc
	v_mul_lo_u32 v10, s25, v8
	v_mul_lo_u32 v11, s24, v9
	v_mad_u64_u32 v[4:5], s[0:1], s24, v8, 0
	v_add3_u32 v5, v5, v11, v10
	v_sub_u32_e32 v10, v7, v5
	v_mov_b32_e32 v11, s25
	v_sub_co_u32_e32 v4, vcc, v6, v4
	v_subb_co_u32_e64 v10, s[0:1], v10, v11, vcc
	v_subrev_co_u32_e64 v11, s[0:1], s24, v4
	v_subbrev_co_u32_e64 v10, s[0:1], 0, v10, s[0:1]
	v_cmp_le_u32_e64 s[0:1], s25, v10
	v_cndmask_b32_e64 v12, 0, -1, s[0:1]
	v_cmp_le_u32_e64 s[0:1], s24, v11
	v_cndmask_b32_e64 v11, 0, -1, s[0:1]
	v_cmp_eq_u32_e64 s[0:1], s25, v10
	v_cndmask_b32_e64 v10, v12, v11, s[0:1]
	v_add_co_u32_e64 v11, s[0:1], 2, v8
	v_addc_co_u32_e64 v12, s[0:1], 0, v9, s[0:1]
	v_add_co_u32_e64 v13, s[0:1], 1, v8
	v_addc_co_u32_e64 v14, s[0:1], 0, v9, s[0:1]
	v_subb_co_u32_e32 v5, vcc, v7, v5, vcc
	v_cmp_ne_u32_e64 s[0:1], 0, v10
	v_cmp_le_u32_e32 vcc, s25, v5
	v_cndmask_b32_e64 v10, v14, v12, s[0:1]
	v_cndmask_b32_e64 v12, 0, -1, vcc
	v_cmp_le_u32_e32 vcc, s24, v4
	v_cndmask_b32_e64 v4, 0, -1, vcc
	v_cmp_eq_u32_e32 vcc, s25, v5
	v_cndmask_b32_e32 v4, v12, v4, vcc
	v_cmp_ne_u32_e32 vcc, 0, v4
	v_cndmask_b32_e64 v4, v13, v11, s[0:1]
	v_cndmask_b32_e32 v5, v9, v10, vcc
	v_cndmask_b32_e32 v4, v8, v4, vcc
.LBB0_4:                                ;   in Loop: Header=BB0_2 Depth=1
	s_andn2_saveexec_b64 s[0:1], s[26:27]
	s_cbranch_execz .LBB0_6
; %bb.5:                                ;   in Loop: Header=BB0_2 Depth=1
	v_cvt_f32_u32_e32 v4, s24
	s_sub_i32 s26, 0, s24
	v_rcp_iflag_f32_e32 v4, v4
	v_mul_f32_e32 v4, 0x4f7ffffe, v4
	v_cvt_u32_f32_e32 v4, v4
	v_mul_lo_u32 v5, s26, v4
	v_mul_hi_u32 v5, v4, v5
	v_add_u32_e32 v4, v4, v5
	v_mul_hi_u32 v4, v6, v4
	v_mul_lo_u32 v5, v4, s24
	v_add_u32_e32 v8, 1, v4
	v_sub_u32_e32 v5, v6, v5
	v_subrev_u32_e32 v9, s24, v5
	v_cmp_le_u32_e32 vcc, s24, v5
	v_cndmask_b32_e32 v5, v5, v9, vcc
	v_cndmask_b32_e32 v4, v4, v8, vcc
	v_add_u32_e32 v8, 1, v4
	v_cmp_le_u32_e32 vcc, s24, v5
	v_cndmask_b32_e32 v4, v4, v8, vcc
	v_mov_b32_e32 v5, v3
.LBB0_6:                                ;   in Loop: Header=BB0_2 Depth=1
	s_or_b64 exec, exec, s[0:1]
	v_mul_lo_u32 v10, v5, s24
	v_mul_lo_u32 v11, v4, s25
	v_mad_u64_u32 v[8:9], s[0:1], v4, s24, 0
	s_load_dwordx2 s[0:1], s[6:7], 0x0
	s_load_dwordx2 s[24:25], s[2:3], 0x0
	v_add3_u32 v9, v9, v11, v10
	v_sub_co_u32_e32 v6, vcc, v6, v8
	v_subb_co_u32_e32 v7, vcc, v7, v9, vcc
	s_waitcnt lgkmcnt(0)
	v_mul_lo_u32 v8, s0, v7
	v_mul_lo_u32 v9, s1, v6
	v_mad_u64_u32 v[23:24], s[0:1], s0, v6, v[23:24]
	v_mul_lo_u32 v7, s24, v7
	v_mul_lo_u32 v10, s25, v6
	v_mad_u64_u32 v[1:2], s[0:1], s24, v6, v[1:2]
	s_add_u32 s22, s22, 1
	s_addc_u32 s23, s23, 0
	s_add_u32 s2, s2, 8
	v_add3_u32 v2, v10, v2, v7
	s_addc_u32 s3, s3, 0
	v_mov_b32_e32 v6, s14
	s_add_u32 s6, s6, 8
	v_mov_b32_e32 v7, s15
	s_addc_u32 s7, s7, 0
	v_cmp_ge_u64_e32 vcc, s[22:23], v[6:7]
	s_add_u32 s20, s20, 8
	v_add3_u32 v24, v9, v24, v8
	s_addc_u32 s21, s21, 0
	s_cbranch_vccnz .LBB0_9
; %bb.7:                                ;   in Loop: Header=BB0_2 Depth=1
	v_mov_b32_e32 v7, v5
	v_mov_b32_e32 v6, v4
	s_branch .LBB0_2
.LBB0_8:
	v_mov_b32_e32 v1, v23
	v_mov_b32_e32 v4, v6
	;; [unrolled: 1-line block ×4, first 2 shown]
.LBB0_9:
	s_lshl_b64 s[14:15], s[14:15], 3
	s_load_dwordx2 s[0:1], s[4:5], 0x28
	s_add_u32 s2, s18, s14
	s_mov_b32 s3, 0x226b903
	v_mul_hi_u32 v3, v0, s3
	s_addc_u32 s3, s19, s15
	s_load_dwordx2 s[4:5], s[2:3], 0x0
	s_waitcnt lgkmcnt(0)
	v_cmp_gt_u64_e64 s[0:1], s[0:1], v[4:5]
	v_mul_u32_u24_e32 v3, 0x77, v3
	v_sub_u32_e32 v6, v0, v3
	v_mov_b32_e32 v8, 0
	v_mov_b32_e32 v3, 0
	;; [unrolled: 1-line block ×3, first 2 shown]
                                        ; implicit-def: $vgpr10
                                        ; implicit-def: $vgpr12
                                        ; implicit-def: $vgpr14
                                        ; implicit-def: $vgpr22
                                        ; implicit-def: $vgpr16
                                        ; implicit-def: $vgpr18
                                        ; implicit-def: $vgpr20
                                        ; implicit-def: $vgpr26
                                        ; implicit-def: $vgpr28
                                        ; implicit-def: $vgpr32
                                        ; implicit-def: $vgpr42
                                        ; implicit-def: $vgpr40
                                        ; implicit-def: $vgpr38
                                        ; implicit-def: $vgpr36
                                        ; implicit-def: $vgpr34
                                        ; implicit-def: $vgpr30
	s_and_saveexec_b64 s[2:3], s[0:1]
	s_cbranch_execz .LBB0_13
; %bb.10:
	s_movk_i32 s6, 0x4d
	v_cmp_gt_u32_e32 vcc, s6, v6
	v_mov_b32_e32 v7, 0
	v_mov_b32_e32 v8, 0
                                        ; implicit-def: $vgpr29
                                        ; implicit-def: $vgpr33
                                        ; implicit-def: $vgpr35
                                        ; implicit-def: $vgpr37
                                        ; implicit-def: $vgpr39
                                        ; implicit-def: $vgpr41
                                        ; implicit-def: $vgpr31
                                        ; implicit-def: $vgpr27
                                        ; implicit-def: $vgpr25
                                        ; implicit-def: $vgpr19
                                        ; implicit-def: $vgpr17
                                        ; implicit-def: $vgpr15
                                        ; implicit-def: $vgpr21
                                        ; implicit-def: $vgpr13
                                        ; implicit-def: $vgpr11
                                        ; implicit-def: $vgpr9
	s_and_saveexec_b64 s[6:7], vcc
	s_cbranch_execz .LBB0_12
; %bb.11:
	s_add_u32 s14, s16, s14
	s_addc_u32 s15, s17, s15
	s_load_dwordx2 s[14:15], s[14:15], 0x0
	v_mov_b32_e32 v10, s9
	v_mov_b32_e32 v7, 0
	s_waitcnt lgkmcnt(0)
	v_mul_lo_u32 v0, s15, v4
	v_mul_lo_u32 v3, s14, v5
	v_mad_u64_u32 v[8:9], s[14:15], s14, v4, 0
	v_add3_u32 v9, v9, v3, v0
	v_lshlrev_b64 v[8:9], 3, v[8:9]
	v_add_co_u32_e32 v0, vcc, s8, v8
	v_addc_co_u32_e32 v3, vcc, v10, v9, vcc
	v_lshlrev_b64 v[8:9], 3, v[23:24]
	s_movk_i32 s8, 0x1000
	v_add_co_u32_e32 v0, vcc, v0, v8
	v_lshlrev_b64 v[7:8], 3, v[6:7]
	v_addc_co_u32_e32 v3, vcc, v3, v9, vcc
	v_add_co_u32_e32 v23, vcc, v0, v7
	v_addc_co_u32_e32 v24, vcc, v3, v8, vcc
	v_add_co_u32_e32 v43, vcc, s8, v23
	v_addc_co_u32_e32 v44, vcc, 0, v24, vcc
	global_load_dwordx2 v[7:8], v[23:24], off
	global_load_dwordx2 v[9:10], v[23:24], off offset:616
	global_load_dwordx2 v[11:12], v[23:24], off offset:1232
	;; [unrolled: 1-line block ×7, first 2 shown]
	v_add_co_u32_e32 v23, vcc, 0x2000, v23
	v_addc_co_u32_e32 v24, vcc, 0, v24, vcc
	global_load_dwordx2 v[25:26], v[43:44], off offset:832
	global_load_dwordx2 v[27:28], v[43:44], off offset:1448
	;; [unrolled: 1-line block ×9, first 2 shown]
.LBB0_12:
	s_or_b64 exec, exec, s[6:7]
	v_mov_b32_e32 v3, v6
.LBB0_13:
	s_or_b64 exec, exec, s[2:3]
	s_waitcnt vmcnt(0)
	v_add_f32_e32 v0, v9, v41
	v_mul_f32_e32 v58, 0xbe8c1d8e, v0
	v_add_f32_e32 v47, v11, v39
	v_sub_f32_e32 v48, v10, v42
	v_mov_b32_e32 v23, v58
	v_mul_f32_e32 v63, 0xbf59a7d5, v47
	v_fmac_f32_e32 v23, 0xbf763a35, v48
	v_sub_f32_e32 v49, v12, v40
	v_mov_b32_e32 v24, v63
	v_add_f32_e32 v23, v7, v23
	v_fmac_f32_e32 v24, 0x3f06c442, v49
	v_mul_f32_e32 v65, 0xbf1a4643, v0
	v_add_f32_e32 v23, v23, v24
	v_mov_b32_e32 v24, v65
	v_mul_f32_e32 v66, 0xbe8c1d8e, v47
	v_fmac_f32_e32 v24, 0xbf4c4adb, v48
	v_mov_b32_e32 v43, v66
	v_add_f32_e32 v50, v13, v37
	v_add_f32_e32 v24, v7, v24
	v_fmac_f32_e32 v43, 0x3f763a35, v49
	v_mul_f32_e32 v67, 0x3f3d2fb0, v50
	v_add_f32_e32 v24, v24, v43
	v_sub_f32_e32 v52, v14, v38
	v_mov_b32_e32 v43, v67
	v_fmac_f32_e32 v43, 0x3f2c7751, v52
	v_mul_f32_e32 v68, 0x3f6eb680, v50
	v_add_f32_e32 v23, v23, v43
	v_mov_b32_e32 v43, v68
	v_add_f32_e32 v51, v21, v35
	v_fmac_f32_e32 v43, 0xbeb8f4ab, v52
	v_mul_f32_e32 v69, 0x3ee437d1, v51
	v_add_f32_e32 v24, v24, v43
	v_sub_f32_e32 v54, v22, v36
	v_mov_b32_e32 v43, v69
	v_fmac_f32_e32 v43, 0xbf65296c, v54
	v_mul_f32_e32 v70, 0xbf59a7d5, v51
	v_add_f32_e32 v23, v23, v43
	v_mov_b32_e32 v43, v70
	;; [unrolled: 10-line block ×6, first 2 shown]
	v_fmac_f32_e32 v23, 0x3f65296c, v64
	v_mul_f32_e32 v45, 0xbf59a7d5, v0
	v_add_f32_e32 v43, v23, v24
	v_mov_b32_e32 v23, v45
	v_mul_f32_e32 v46, 0x3ee437d1, v47
	v_fmac_f32_e32 v23, 0x3f06c442, v48
	v_mov_b32_e32 v24, v46
	v_add_f32_e32 v23, v7, v23
	v_fmac_f32_e32 v24, 0xbf65296c, v49
	v_mul_f32_e32 v59, 0xbf7ba420, v0
	v_add_f32_e32 v23, v23, v24
	v_mov_b32_e32 v24, v59
	v_mul_f32_e32 v79, 0x3f6eb680, v47
	v_fmac_f32_e32 v24, 0x3e3c28d5, v48
	v_mov_b32_e32 v80, v79
	v_add_f32_e32 v24, v7, v24
	v_fmac_f32_e32 v80, 0xbeb8f4ab, v49
	v_add_f32_e32 v24, v24, v80
	v_mul_f32_e32 v80, 0x3dbcf732, v50
	v_mov_b32_e32 v81, v80
	v_fmac_f32_e32 v81, 0x3f7ee86f, v52
	v_add_f32_e32 v23, v23, v81
	v_mul_f32_e32 v81, 0xbf59a7d5, v50
	v_mov_b32_e32 v82, v81
	;; [unrolled: 4-line block ×9, first 2 shown]
	v_fmac_f32_e32 v89, 0xbf2c7751, v61
	v_fmac_f32_e32 v45, 0xbf06c442, v48
	v_add_f32_e32 v23, v23, v89
	v_mul_f32_e32 v89, 0xbe8c1d8e, v60
	v_add_f32_e32 v45, v7, v45
	v_fmac_f32_e32 v46, 0x3f65296c, v49
	v_fmac_f32_e32 v59, 0xbe3c28d5, v48
	v_mov_b32_e32 v90, v89
	v_add_f32_e32 v45, v45, v46
	v_add_f32_e32 v46, v7, v59
	v_fmac_f32_e32 v79, 0x3eb8f4ab, v49
	v_fmac_f32_e32 v90, 0x3f763a35, v61
	v_add_f32_e32 v46, v46, v79
	v_fmac_f32_e32 v80, 0xbf7ee86f, v52
	v_fmac_f32_e32 v81, 0xbf06c442, v52
	v_add_f32_e32 v24, v24, v90
	v_mul_f32_e32 v90, 0xbe8c1d8e, v62
	v_add_f32_e32 v45, v45, v80
	v_add_f32_e32 v46, v46, v81
	v_fmac_f32_e32 v82, 0x3f4c4adb, v54
	v_fmac_f32_e32 v83, 0x3f2c7751, v54
	v_mov_b32_e32 v91, v90
	v_add_f32_e32 v45, v45, v82
	v_add_f32_e32 v46, v46, v83
	v_fmac_f32_e32 v84, 0xbeb8f4ab, v55
	v_fmac_f32_e32 v85, 0xbf4c4adb, v55
	v_fmac_f32_e32 v91, 0x3f763a35, v64
	v_add_f32_e32 v45, v45, v84
	v_add_f32_e32 v46, v46, v85
	v_fmac_f32_e32 v86, 0xbe3c28d5, v57
	v_fmac_f32_e32 v87, 0x3f65296c, v57
	v_add_f32_e32 v23, v91, v23
	v_mul_f32_e32 v91, 0x3dbcf732, v62
	v_add_f32_e32 v45, v86, v45
	v_add_f32_e32 v46, v87, v46
	v_fmac_f32_e32 v88, 0x3f2c7751, v61
	v_fmac_f32_e32 v89, 0xbf763a35, v61
	v_mov_b32_e32 v92, v91
	v_add_f32_e32 v45, v45, v88
	v_add_f32_e32 v59, v46, v89
	v_fmac_f32_e32 v90, 0xbf763a35, v64
	v_fmac_f32_e32 v91, 0x3f7ee86f, v64
	v_mul_f32_e32 v79, 0x3dbcf732, v0
	v_add_f32_e32 v46, v90, v45
	v_add_f32_e32 v45, v91, v59
	v_mov_b32_e32 v59, v79
	v_mul_f32_e32 v80, 0xbf7ba420, v47
	v_fmac_f32_e32 v59, 0xbf7ee86f, v48
	v_mov_b32_e32 v81, v80
	v_add_f32_e32 v59, v7, v59
	v_fmac_f32_e32 v81, 0xbe3c28d5, v49
	v_add_f32_e32 v59, v59, v81
	v_mul_f32_e32 v81, 0xbe8c1d8e, v50
	v_mov_b32_e32 v82, v81
	v_fmac_f32_e32 v82, 0x3f763a35, v52
	v_add_f32_e32 v59, v59, v82
	v_mul_f32_e32 v82, 0x3f6eb680, v51
	v_mov_b32_e32 v83, v82
	;; [unrolled: 4-line block ×6, first 2 shown]
	v_fmac_f32_e32 v92, 0xbf7ee86f, v64
	v_fmac_f32_e32 v87, 0x3f2c7751, v64
	s_movk_i32 s2, 0x4d
	v_add_f32_e32 v24, v92, v24
	v_add_f32_e32 v59, v87, v59
	s_mov_b32 s16, 0x3dbcf732
	s_mov_b32 s15, 0xbe8c1d8e
	;; [unrolled: 1-line block ×8, first 2 shown]
	v_cmp_gt_u32_e64 s[2:3], s2, v6
	s_and_saveexec_b64 s[6:7], s[2:3]
	s_cbranch_execz .LBB0_15
; %bb.14:
	v_mul_f32_e32 v88, 0xbf763a35, v48
	v_mul_f32_e32 v89, 0xbf4c4adb, v48
	;; [unrolled: 1-line block ×3, first 2 shown]
	v_sub_f32_e32 v58, v58, v88
	v_mul_f32_e32 v92, 0x3f763a35, v49
	v_mul_f32_e32 v94, 0x3f2c7751, v52
	v_sub_f32_e32 v65, v65, v89
	v_add_f32_e32 v58, v7, v58
	v_sub_f32_e32 v63, v63, v91
	v_mul_f32_e32 v95, 0xbeb8f4ab, v52
	v_mul_f32_e32 v97, 0xbf65296c, v54
	v_add_f32_e32 v65, v7, v65
	v_sub_f32_e32 v66, v66, v92
	v_add_f32_e32 v58, v58, v63
	v_sub_f32_e32 v63, v67, v94
	v_mul_f32_e32 v98, 0xbf06c442, v54
	v_mul_f32_e32 v100, 0xbe3c28d5, v55
	v_add_f32_e32 v65, v65, v66
	;; [unrolled: 6-line block ×6, first 2 shown]
	v_sub_f32_e32 v66, v76, v107
	v_add_f32_e32 v58, v58, v63
	v_sub_f32_e32 v63, v77, v109
	v_mul_f32_e32 v90, 0xbe3c28d5, v49
	v_add_f32_e32 v65, v65, v66
	v_sub_f32_e32 v66, v78, v110
	v_add_f32_e32 v58, v63, v58
	v_sub_f32_e32 v63, v79, v87
	v_mul_f32_e32 v93, 0x3f763a35, v52
	v_add_f32_e32 v65, v66, v65
	v_add_f32_e32 v63, v7, v63
	v_sub_f32_e32 v66, v80, v90
	v_mul_f32_e32 v96, 0x3eb8f4ab, v54
	v_add_f32_e32 v63, v63, v66
	v_sub_f32_e32 v66, v81, v93
	v_mul_f32_e32 v99, 0xbf65296c, v55
	;; [unrolled: 3-line block ×5, first 2 shown]
	v_add_f32_e32 v63, v66, v63
	v_sub_f32_e32 v66, v85, v105
	v_add_f32_e32 v63, v63, v66
	v_sub_f32_e32 v66, v86, v108
	v_add_f32_e32 v63, v66, v63
	v_mul_f32_e32 v66, 0xbf65296c, v48
	v_mov_b32_e32 v67, v66
	v_mul_f32_e32 v68, 0xbf4c4adb, v49
	v_fmac_f32_e32 v67, 0x3ee437d1, v0
	v_mov_b32_e32 v69, v68
	v_add_f32_e32 v67, v7, v67
	v_fmac_f32_e32 v69, 0xbf1a4643, v47
	v_add_f32_e32 v67, v67, v69
	v_mul_f32_e32 v69, 0x3e3c28d5, v52
	v_mov_b32_e32 v70, v69
	v_fmac_f32_e32 v70, 0xbf7ba420, v50
	v_add_f32_e32 v67, v67, v70
	v_mul_f32_e32 v70, 0x3f763a35, v54
	v_mov_b32_e32 v71, v70
	;; [unrolled: 4-line block ×3, first 2 shown]
	v_fmac_f32_e32 v72, 0x3f3d2fb0, v53
	v_add_f32_e32 v67, v67, v72
	v_mul_f32_e32 v72, 0xbeb8f4ab, v57
	v_fma_f32 v66, v0, s17, -v66
	v_mov_b32_e32 v73, v72
	v_add_f32_e32 v66, v7, v66
	v_fma_f32 v68, v47, s14, -v68
	v_fmac_f32_e32 v73, 0x3f6eb680, v56
	v_add_f32_e32 v66, v66, v68
	v_fma_f32 v68, v50, s8, -v69
	v_add_f32_e32 v67, v73, v67
	v_mul_f32_e32 v73, 0xbf7ee86f, v61
	v_add_f32_e32 v66, v66, v68
	v_fma_f32 v68, v51, s15, -v70
	v_mov_b32_e32 v74, v73
	v_add_f32_e32 v66, v66, v68
	v_fma_f32 v68, v53, s18, -v71
	v_fmac_f32_e32 v74, 0x3dbcf732, v60
	v_add_f32_e32 v66, v66, v68
	v_fma_f32 v68, v56, s19, -v72
	v_add_f32_e32 v67, v67, v74
	v_mul_f32_e32 v74, 0xbf06c442, v64
	v_add_f32_e32 v66, v68, v66
	v_fma_f32 v68, v60, s16, -v73
	v_add_f32_e32 v66, v66, v68
	v_fma_f32 v68, v62, s9, -v74
	v_add_f32_e32 v66, v68, v66
	v_mul_f32_e32 v68, 0xbf2c7751, v48
	v_mov_b32_e32 v69, v68
	v_mul_f32_e32 v70, 0xbf7ee86f, v49
	v_fmac_f32_e32 v69, 0x3f3d2fb0, v0
	v_mov_b32_e32 v71, v70
	v_add_f32_e32 v69, v7, v69
	v_fmac_f32_e32 v71, 0x3dbcf732, v47
	v_add_f32_e32 v69, v69, v71
	v_mul_f32_e32 v71, 0xbf4c4adb, v52
	v_mov_b32_e32 v72, v71
	v_fmac_f32_e32 v72, 0xbf1a4643, v50
	v_add_f32_e32 v69, v69, v72
	v_mul_f32_e32 v72, 0xbe3c28d5, v54
	v_mov_b32_e32 v73, v72
	;; [unrolled: 4-line block ×3, first 2 shown]
	v_mov_b32_e32 v74, v73
	v_fmac_f32_e32 v74, 0xbf59a7d5, v53
	v_fmac_f32_e32 v75, 0xbf59a7d5, v62
	v_add_f32_e32 v69, v69, v74
	v_mul_f32_e32 v74, 0x3f763a35, v57
	v_fma_f32 v68, v0, s18, -v68
	v_add_f32_e32 v67, v75, v67
	v_mov_b32_e32 v75, v74
	v_add_f32_e32 v68, v7, v68
	v_fma_f32 v70, v47, s16, -v70
	v_fmac_f32_e32 v75, 0xbe8c1d8e, v56
	v_add_f32_e32 v68, v68, v70
	v_fma_f32 v70, v50, s14, -v71
	v_add_f32_e32 v69, v75, v69
	v_mul_f32_e32 v75, 0x3f65296c, v61
	v_add_f32_e32 v68, v68, v70
	v_fma_f32 v70, v51, s8, -v72
	v_mov_b32_e32 v76, v75
	v_add_f32_e32 v68, v68, v70
	v_fma_f32 v70, v53, s9, -v73
	v_fmac_f32_e32 v76, 0x3ee437d1, v60
	v_add_f32_e32 v68, v68, v70
	v_fma_f32 v70, v56, s15, -v74
	v_add_f32_e32 v69, v69, v76
	v_mul_f32_e32 v76, 0x3eb8f4ab, v64
	v_add_f32_e32 v68, v70, v68
	v_fma_f32 v70, v60, s17, -v75
	v_add_f32_e32 v68, v68, v70
	v_fma_f32 v70, v62, s19, -v76
	v_mul_f32_e32 v48, 0xbeb8f4ab, v48
	v_add_f32_e32 v68, v70, v68
	v_mov_b32_e32 v70, v48
	v_fmac_f32_e32 v70, 0x3f6eb680, v0
	v_fma_f32 v0, v0, s19, -v48
	v_add_f32_e32 v70, v7, v70
	v_add_f32_e32 v0, v7, v0
	;; [unrolled: 1-line block ×3, first 2 shown]
	v_mul_f32_e32 v49, 0xbf2c7751, v49
	v_add_f32_e32 v7, v7, v11
	v_mov_b32_e32 v71, v49
	v_add_f32_e32 v7, v7, v13
	v_fmac_f32_e32 v71, 0x3f3d2fb0, v47
	v_mul_f32_e32 v52, 0xbf65296c, v52
	v_add_f32_e32 v7, v7, v21
	v_add_f32_e32 v70, v70, v71
	v_mov_b32_e32 v71, v52
	v_add_f32_e32 v7, v7, v15
	v_fmac_f32_e32 v71, 0x3ee437d1, v50
	v_mul_f32_e32 v54, 0xbf7ee86f, v54
	v_add_f32_e32 v7, v7, v17
	;; [unrolled: 6-line block ×3, first 2 shown]
	v_add_f32_e32 v70, v70, v71
	v_mov_b32_e32 v71, v55
	v_fma_f32 v47, v47, s18, -v49
	v_add_f32_e32 v7, v7, v27
	v_fmac_f32_e32 v71, 0xbe8c1d8e, v53
	v_mul_f32_e32 v57, 0xbf4c4adb, v57
	v_add_f32_e32 v0, v0, v47
	v_fma_f32 v47, v50, s17, -v52
	v_add_f32_e32 v7, v7, v29
	v_add_f32_e32 v70, v70, v71
	v_mov_b32_e32 v71, v57
	v_add_f32_e32 v0, v0, v47
	v_fma_f32 v47, v51, s16, -v54
	v_add_f32_e32 v7, v31, v7
	v_fmac_f32_e32 v71, 0xbf1a4643, v56
	v_mul_f32_e32 v61, 0xbf06c442, v61
	v_add_f32_e32 v0, v0, v47
	v_fma_f32 v47, v53, s15, -v55
	v_add_f32_e32 v7, v33, v7
	v_add_f32_e32 v70, v71, v70
	v_mov_b32_e32 v71, v61
	v_add_f32_e32 v0, v0, v47
	v_fma_f32 v47, v56, s14, -v57
	v_add_f32_e32 v7, v35, v7
	v_fmac_f32_e32 v71, 0xbf59a7d5, v60
	v_mul_f32_e32 v64, 0xbe3c28d5, v64
	v_add_f32_e32 v0, v47, v0
	v_fma_f32 v47, v60, s9, -v61
	v_add_f32_e32 v7, v37, v7
	v_mov_b32_e32 v77, v76
	v_add_f32_e32 v70, v70, v71
	v_mov_b32_e32 v71, v64
	v_add_f32_e32 v0, v0, v47
	v_fma_f32 v47, v62, s8, -v64
	v_add_f32_e32 v7, v39, v7
	s_movk_i32 s8, 0x44
	v_fmac_f32_e32 v77, 0x3f6eb680, v62
	v_fmac_f32_e32 v71, 0xbf7ba420, v62
	v_add_f32_e32 v0, v47, v0
	v_add_f32_e32 v7, v41, v7
	v_mad_u32_u24 v47, v6, s8, 0
	v_add_f32_e32 v69, v77, v69
	v_add_f32_e32 v70, v71, v70
	ds_write2_b32 v47, v7, v0 offset1:1
	ds_write2_b32 v47, v68, v66 offset0:2 offset1:3
	ds_write2_b32 v47, v63, v58 offset0:4 offset1:5
	;; [unrolled: 1-line block ×7, first 2 shown]
	ds_write_b32 v47, v70 offset:64
.LBB0_15:
	s_or_b64 exec, exec, s[6:7]
	v_lshl_add_u32 v0, v6, 2, 0
	v_add_u32_e32 v7, 0x500, v0
	s_waitcnt lgkmcnt(0)
	s_barrier
	ds_read2_b32 v[51:52], v7 offset0:54 offset1:241
	v_add_u32_e32 v7, 0xb00, v0
	ds_read2_b32 v[47:48], v0 offset1:187
	ds_read2_b32 v[49:50], v7 offset0:44 offset1:231
	ds_read_b32 v60, v0 offset:4488
	s_movk_i32 s6, 0x44
	v_cmp_gt_u32_e32 vcc, s6, v6
	s_and_saveexec_b64 s[6:7], vcc
	s_cbranch_execz .LBB0_17
; %bb.16:
	v_add_u32_e32 v7, 0x100, v0
	ds_read2_b32 v[23:24], v7 offset0:55 offset1:242
	v_add_u32_e32 v7, 0x700, v0
	ds_read2_b32 v[45:46], v7 offset0:45 offset1:232
	;; [unrolled: 2-line block ×3, first 2 shown]
	ds_read_b32 v59, v0 offset:4964
.LBB0_17:
	s_or_b64 exec, exec, s[6:7]
	v_sub_f32_e32 v64, v9, v41
	v_mul_f32_e32 v58, 0xbe3c28d5, v64
	v_add_f32_e32 v7, v10, v42
	s_mov_b32 s9, 0x3dbcf732
	v_mul_f32_e32 v9, 0xbf7ee86f, v64
	v_mov_b32_e32 v61, v58
	v_fma_f32 v41, v7, s9, -v9
	v_fmac_f32_e32 v61, 0xbf7ba420, v7
	v_sub_f32_e32 v81, v11, v39
	v_add_f32_e32 v53, v8, v41
	s_mov_b32 s16, 0xbe8c1d8e
	v_mul_f32_e32 v41, 0xbf763a35, v64
	s_mov_b32 s14, 0xbf7ba420
	v_add_f32_e32 v62, v8, v61
	v_add_f32_e32 v61, v12, v40
	v_mul_f32_e32 v39, 0xbe3c28d5, v81
	v_fma_f32 v54, v7, s16, -v41
	s_mov_b32 s17, 0xbf1a4643
	v_mul_f32_e32 v65, 0xbf4c4adb, v64
	s_mov_b32 s8, 0xbf59a7d5
	v_fma_f32 v11, v61, s14, -v39
	v_mul_f32_e32 v66, 0x3f06c442, v81
	v_sub_f32_e32 v83, v13, v37
	v_add_f32_e32 v54, v8, v54
	v_fma_f32 v55, v7, s17, -v65
	v_add_f32_e32 v11, v53, v11
	v_fma_f32 v53, v61, s8, -v66
	v_mul_f32_e32 v73, 0x3f763a35, v81
	v_add_f32_e32 v67, v14, v38
	v_mul_f32_e32 v68, 0x3f763a35, v83
	v_sub_f32_e32 v84, v21, v35
	v_add_f32_e32 v55, v8, v55
	v_mul_f32_e32 v56, 0xbf06c442, v64
	v_add_f32_e32 v53, v54, v53
	v_fma_f32 v54, v61, s16, -v73
	s_mov_b32 s15, 0x3f6eb680
	v_fma_f32 v13, v67, s16, -v68
	s_mov_b32 s19, 0x3f3d2fb0
	v_mul_f32_e32 v76, 0x3f2c7751, v83
	v_add_f32_e32 v69, v22, v36
	v_mul_f32_e32 v70, 0x3eb8f4ab, v84
	v_mov_b32_e32 v57, v56
	v_fma_f32 v56, v7, s8, -v56
	v_add_f32_e32 v54, v55, v54
	v_mul_f32_e32 v55, 0x3f65296c, v81
	s_mov_b32 s18, 0x3ee437d1
	v_add_f32_e32 v11, v11, v13
	v_fma_f32 v13, v67, s19, -v76
	v_mul_f32_e32 v79, 0xbeb8f4ab, v83
	v_fma_f32 v21, v69, s15, -v70
	v_mul_f32_e32 v74, 0xbf65296c, v84
	v_fmac_f32_e32 v57, 0xbf59a7d5, v7
	v_add_f32_e32 v56, v8, v56
	v_mov_b32_e32 v63, v55
	v_fma_f32 v55, v61, s18, -v55
	v_add_f32_e32 v13, v53, v13
	v_fma_f32 v37, v67, s15, -v79
	v_mul_f32_e32 v53, 0xbf7ee86f, v83
	v_add_f32_e32 v11, v11, v21
	v_fma_f32 v21, v69, s18, -v74
	v_mul_f32_e32 v77, 0xbf06c442, v84
	v_add_f32_e32 v57, v8, v57
	v_fmac_f32_e32 v63, 0x3ee437d1, v61
	v_add_f32_e32 v55, v56, v55
	v_mul_f32_e32 v56, 0x3eb8f4ab, v81
	v_add_f32_e32 v37, v54, v37
	v_mov_b32_e32 v54, v53
	v_fma_f32 v53, v67, s9, -v53
	v_add_f32_e32 v13, v13, v21
	v_fma_f32 v21, v69, s8, -v77
	v_mul_f32_e32 v35, 0x3f4c4adb, v84
	v_fma_f32 v58, v7, s14, -v58
	v_add_f32_e32 v57, v57, v63
	v_mov_b32_e32 v63, v56
	v_fmac_f32_e32 v54, 0x3dbcf732, v67
	v_add_f32_e32 v53, v55, v53
	v_mul_f32_e32 v55, 0xbf06c442, v83
	v_add_f32_e32 v21, v37, v21
	v_mov_b32_e32 v37, v35
	v_fma_f32 v35, v69, s17, -v35
	v_add_f32_e32 v58, v8, v58
	v_fmac_f32_e32 v63, 0x3f6eb680, v61
	v_fma_f32 v56, v61, s15, -v56
	v_add_f32_e32 v54, v57, v54
	v_mov_b32_e32 v57, v55
	v_fmac_f32_e32 v37, 0xbf1a4643, v69
	v_add_f32_e32 v53, v53, v35
	v_mul_f32_e32 v35, 0x3f2c7751, v84
	v_add_f32_e32 v62, v62, v63
	v_add_f32_e32 v56, v58, v56
	v_fmac_f32_e32 v57, 0xbf59a7d5, v67
	v_fma_f32 v55, v67, s8, -v55
	v_add_f32_e32 v54, v54, v37
	v_mov_b32_e32 v37, v35
	v_add_f32_e32 v57, v62, v57
	v_add_f32_e32 v55, v56, v55
	v_fmac_f32_e32 v37, 0x3f3d2fb0, v69
	v_fma_f32 v35, v69, s19, -v35
	v_sub_f32_e32 v82, v15, v33
	v_add_f32_e32 v56, v57, v37
	v_add_f32_e32 v55, v55, v35
	;; [unrolled: 1-line block ×3, first 2 shown]
	v_mul_f32_e32 v37, 0xbf65296c, v82
	v_fma_f32 v15, v35, s18, -v37
	v_mul_f32_e32 v71, 0xbe3c28d5, v82
	v_add_f32_e32 v11, v11, v15
	v_fma_f32 v15, v35, s14, -v71
	v_mul_f32_e32 v75, 0x3f7ee86f, v82
	v_add_f32_e32 v13, v13, v15
	v_fma_f32 v15, v35, s9, -v75
	v_add_f32_e32 v15, v21, v15
	v_mul_f32_e32 v21, 0xbeb8f4ab, v82
	v_mov_b32_e32 v33, v21
	v_fmac_f32_e32 v33, 0x3f6eb680, v35
	v_add_f32_e32 v54, v54, v33
	v_fma_f32 v21, v35, s15, -v21
	v_mul_f32_e32 v33, 0xbf4c4adb, v82
	v_add_f32_e32 v21, v53, v21
	v_mov_b32_e32 v53, v33
	v_fma_f32 v33, v35, s17, -v33
	v_sub_f32_e32 v80, v17, v31
	v_add_f32_e32 v55, v55, v33
	v_add_f32_e32 v33, v18, v32
	v_mul_f32_e32 v31, 0xbf06c442, v80
	v_fma_f32 v17, v33, s8, -v31
	v_mul_f32_e32 v62, 0x3f7ee86f, v80
	v_add_f32_e32 v11, v17, v11
	v_fma_f32 v17, v33, s9, -v62
	v_mul_f32_e32 v72, 0xbf2c7751, v80
	v_add_f32_e32 v13, v17, v13
	v_fma_f32 v17, v33, s19, -v72
	v_fmac_f32_e32 v53, 0xbf1a4643, v35
	v_add_f32_e32 v15, v17, v15
	v_mul_f32_e32 v17, 0xbe3c28d5, v80
	v_add_f32_e32 v53, v56, v53
	v_mov_b32_e32 v56, v17
	v_fma_f32 v17, v33, s14, -v17
	v_fmac_f32_e32 v56, 0xbf7ba420, v33
	v_add_f32_e32 v21, v17, v21
	v_mul_f32_e32 v17, 0x3f65296c, v80
	v_add_f32_e32 v54, v56, v54
	v_mov_b32_e32 v56, v17
	v_fma_f32 v17, v33, s18, -v17
	v_sub_f32_e32 v78, v19, v29
	v_add_f32_e32 v55, v17, v55
	v_add_f32_e32 v17, v20, v30
	v_mul_f32_e32 v19, 0x3f4c4adb, v78
	v_fmac_f32_e32 v56, 0x3ee437d1, v33
	v_fma_f32 v29, v17, s17, -v19
	v_add_f32_e32 v53, v56, v53
	v_add_f32_e32 v56, v11, v29
	v_mul_f32_e32 v29, 0xbeb8f4ab, v78
	v_fma_f32 v11, v17, s15, -v29
	v_mul_f32_e32 v63, 0xbe3c28d5, v78
	v_add_f32_e32 v57, v13, v11
	v_fma_f32 v11, v17, s14, -v63
	v_add_f32_e32 v58, v15, v11
	v_mul_f32_e32 v11, 0x3f2c7751, v78
	v_mov_b32_e32 v13, v11
	v_fma_f32 v11, v17, s19, -v11
	v_fmac_f32_e32 v13, 0x3f3d2fb0, v17
	v_add_f32_e32 v85, v21, v11
	v_mul_f32_e32 v11, 0xbf763a35, v78
	v_add_f32_e32 v54, v54, v13
	v_mov_b32_e32 v13, v11
	v_fma_f32 v11, v17, s16, -v11
	v_sub_f32_e32 v27, v25, v27
	v_fmac_f32_e32 v13, 0xbe8c1d8e, v17
	v_add_f32_e32 v87, v55, v11
	v_add_f32_e32 v11, v26, v28
	v_mul_f32_e32 v15, 0x3f2c7751, v27
	v_mul_f32_e32 v21, 0xbf4c4adb, v27
	v_add_f32_e32 v86, v53, v13
	v_fma_f32 v13, v11, s19, -v15
	v_fma_f32 v25, v11, s17, -v21
	v_add_f32_e32 v13, v13, v56
	v_add_f32_e32 v56, v25, v57
	v_mul_f32_e32 v25, 0x3f65296c, v27
	v_fma_f32 v53, v11, s18, -v25
	v_mul_f32_e32 v57, 0xbf763a35, v27
	v_add_f32_e32 v55, v53, v58
	v_mov_b32_e32 v53, v57
	v_fmac_f32_e32 v53, 0xbe8c1d8e, v11
	v_add_f32_e32 v53, v53, v54
	v_fma_f32 v54, v11, s16, -v57
	v_mul_f32_e32 v57, 0x3f7ee86f, v27
	v_add_f32_e32 v58, v54, v85
	v_mov_b32_e32 v54, v57
	v_fmac_f32_e32 v54, 0x3dbcf732, v11
	v_fma_f32 v57, v11, s9, -v57
	v_add_f32_e32 v54, v54, v86
	v_add_f32_e32 v57, v57, v87
	s_waitcnt lgkmcnt(0)
	s_barrier
	s_and_saveexec_b64 s[6:7], s[2:3]
	s_cbranch_execz .LBB0_19
; %bb.18:
	v_add_f32_e32 v10, v8, v10
	v_add_f32_e32 v10, v10, v12
	;; [unrolled: 1-line block ×7, first 2 shown]
	v_mul_f32_e32 v20, 0xbf65296c, v64
	v_mul_f32_e32 v85, 0x3dbcf732, v7
	v_mul_f32_e32 v86, 0xbe8c1d8e, v7
	v_mul_f32_e32 v87, 0xbf1a4643, v7
	v_mul_f32_e32 v12, 0xbeb8f4ab, v64
	v_mul_f32_e32 v16, 0xbf2c7751, v64
	v_mov_b32_e32 v22, v20
	v_add_f32_e32 v10, v10, v26
	v_fma_f32 v14, v7, s15, -v12
	v_fmac_f32_e32 v12, 0x3f6eb680, v7
	v_fma_f32 v18, v7, s19, -v16
	v_fmac_f32_e32 v16, 0x3f3d2fb0, v7
	v_fmac_f32_e32 v22, 0x3ee437d1, v7
	v_fma_f32 v7, v7, s18, -v20
	v_add_f32_e32 v9, v85, v9
	v_add_f32_e32 v20, v86, v41
	;; [unrolled: 1-line block ×12, first 2 shown]
	v_mul_f32_e32 v26, 0xbf2c7751, v81
	v_add_f32_e32 v10, v10, v28
	v_fma_f32 v28, v61, s19, -v26
	v_fmac_f32_e32 v26, 0x3f3d2fb0, v61
	v_add_f32_e32 v12, v12, v26
	v_mul_f32_e32 v26, 0xbf7ee86f, v81
	v_add_f32_e32 v14, v14, v28
	v_fma_f32 v28, v61, s9, -v26
	v_fmac_f32_e32 v26, 0x3dbcf732, v61
	v_add_f32_e32 v16, v16, v26
	v_mul_f32_e32 v26, 0xbf4c4adb, v81
	v_mul_f32_e32 v88, 0xbf7ba420, v61
	v_add_f32_e32 v18, v18, v28
	v_mov_b32_e32 v28, v26
	v_fma_f32 v26, v61, s17, -v26
	v_mul_f32_e32 v89, 0xbf59a7d5, v61
	v_add_f32_e32 v7, v7, v26
	v_add_f32_e32 v26, v88, v39
	v_mul_f32_e32 v90, 0xbe8c1d8e, v61
	v_add_f32_e32 v9, v9, v26
	v_add_f32_e32 v26, v89, v66
	v_add_f32_e32 v20, v20, v26
	v_add_f32_e32 v26, v90, v73
	v_fmac_f32_e32 v28, 0xbf1a4643, v61
	v_add_f32_e32 v8, v8, v26
	v_mul_f32_e32 v26, 0xbf65296c, v83
	v_add_f32_e32 v22, v22, v28
	v_fma_f32 v28, v67, s18, -v26
	v_fmac_f32_e32 v26, 0x3ee437d1, v67
	v_add_f32_e32 v12, v12, v26
	v_mul_f32_e32 v26, 0xbf4c4adb, v83
	v_add_f32_e32 v14, v14, v28
	v_fma_f32 v28, v67, s17, -v26
	v_fmac_f32_e32 v26, 0xbf1a4643, v67
	v_add_f32_e32 v16, v16, v26
	v_mul_f32_e32 v26, 0x3e3c28d5, v83
	v_mul_f32_e32 v91, 0xbe8c1d8e, v67
	v_add_f32_e32 v18, v18, v28
	v_mov_b32_e32 v28, v26
	v_fma_f32 v26, v67, s14, -v26
	v_mul_f32_e32 v92, 0x3f3d2fb0, v67
	v_add_f32_e32 v7, v7, v26
	v_add_f32_e32 v26, v91, v68
	v_mul_f32_e32 v93, 0x3f6eb680, v67
	v_add_f32_e32 v9, v9, v26
	v_add_f32_e32 v26, v92, v76
	v_add_f32_e32 v20, v20, v26
	v_add_f32_e32 v26, v93, v79
	v_fmac_f32_e32 v28, 0xbf7ba420, v67
	v_add_f32_e32 v8, v8, v26
	v_mul_f32_e32 v26, 0xbf7ee86f, v84
	v_add_f32_e32 v22, v22, v28
	v_fma_f32 v28, v69, s9, -v26
	v_fmac_f32_e32 v26, 0x3dbcf732, v69
	v_add_f32_e32 v12, v12, v26
	v_mul_f32_e32 v26, 0xbe3c28d5, v84
	v_add_f32_e32 v14, v14, v28
	v_fma_f32 v28, v69, s14, -v26
	v_fmac_f32_e32 v26, 0xbf7ba420, v69
	v_add_f32_e32 v16, v16, v26
	v_mul_f32_e32 v26, 0x3f763a35, v84
	v_mul_f32_e32 v94, 0x3f6eb680, v69
	v_add_f32_e32 v18, v18, v28
	v_mov_b32_e32 v28, v26
	v_fma_f32 v26, v69, s16, -v26
	v_mul_f32_e32 v95, 0x3ee437d1, v69
	v_add_f32_e32 v7, v7, v26
	v_add_f32_e32 v26, v94, v70
	v_mul_f32_e32 v96, 0xbf59a7d5, v69
	v_add_f32_e32 v9, v9, v26
	v_add_f32_e32 v26, v95, v74
	v_add_f32_e32 v20, v20, v26
	v_add_f32_e32 v26, v96, v77
	v_fmac_f32_e32 v28, 0xbe8c1d8e, v69
	v_add_f32_e32 v8, v8, v26
	v_mul_f32_e32 v26, 0xbf763a35, v82
	v_add_f32_e32 v22, v22, v28
	v_fma_f32 v28, v35, s16, -v26
	v_fmac_f32_e32 v26, 0xbe8c1d8e, v35
	v_add_f32_e32 v12, v12, v26
	v_mul_f32_e32 v26, 0x3f06c442, v82
	v_add_f32_e32 v14, v14, v28
	v_fma_f32 v28, v35, s8, -v26
	v_fmac_f32_e32 v26, 0xbf59a7d5, v35
	v_add_f32_e32 v16, v16, v26
	v_mul_f32_e32 v26, 0x3f2c7751, v82
	v_mul_f32_e32 v97, 0x3ee437d1, v35
	v_add_f32_e32 v18, v18, v28
	v_mov_b32_e32 v28, v26
	v_fma_f32 v26, v35, s19, -v26
	v_mul_f32_e32 v98, 0xbf7ba420, v35
	v_add_f32_e32 v7, v7, v26
	v_add_f32_e32 v26, v97, v37
	v_mul_f32_e32 v99, 0x3dbcf732, v35
	v_add_f32_e32 v9, v9, v26
	v_add_f32_e32 v26, v98, v71
	v_add_f32_e32 v20, v20, v26
	v_add_f32_e32 v26, v99, v75
	v_fmac_f32_e32 v28, 0x3f3d2fb0, v35
	v_add_f32_e32 v8, v8, v26
	v_mul_f32_e32 v26, 0xbf4c4adb, v80
	v_add_f32_e32 v22, v22, v28
	v_fma_f32 v28, v33, s17, -v26
	v_fmac_f32_e32 v26, 0xbf1a4643, v33
	v_add_f32_e32 v12, v26, v12
	v_mul_f32_e32 v26, 0x3f763a35, v80
	v_add_f32_e32 v14, v28, v14
	v_fma_f32 v28, v33, s16, -v26
	v_fmac_f32_e32 v26, 0xbe8c1d8e, v33
	v_add_f32_e32 v16, v26, v16
	v_mul_f32_e32 v26, 0xbeb8f4ab, v80
	v_mul_f32_e32 v100, 0xbf59a7d5, v33
	v_add_f32_e32 v18, v28, v18
	v_mov_b32_e32 v28, v26
	v_fma_f32 v26, v33, s15, -v26
	v_mul_f32_e32 v101, 0x3dbcf732, v33
	v_add_f32_e32 v7, v26, v7
	v_add_f32_e32 v26, v100, v31
	v_mul_f32_e32 v102, 0x3f3d2fb0, v33
	v_add_f32_e32 v9, v26, v9
	v_add_f32_e32 v26, v101, v62
	v_add_f32_e32 v20, v26, v20
	v_add_f32_e32 v26, v102, v72
	v_fmac_f32_e32 v28, 0x3f6eb680, v33
	v_add_f32_e32 v8, v26, v8
	v_mul_f32_e32 v26, 0xbf06c442, v78
	v_add_f32_e32 v22, v28, v22
	v_fma_f32 v28, v17, s8, -v26
	v_fmac_f32_e32 v26, 0xbf59a7d5, v17
	v_add_f32_e32 v12, v12, v26
	v_mul_f32_e32 v26, 0x3f65296c, v78
	v_add_f32_e32 v14, v14, v28
	v_fma_f32 v28, v17, s18, -v26
	v_fmac_f32_e32 v26, 0x3ee437d1, v17
	v_add_f32_e32 v16, v16, v26
	v_mul_f32_e32 v26, 0xbf7ee86f, v78
	v_add_f32_e32 v18, v18, v28
	v_mov_b32_e32 v28, v26
	v_mul_f32_e32 v103, 0xbf1a4643, v17
	v_mul_f32_e32 v104, 0x3f6eb680, v17
	;; [unrolled: 1-line block ×3, first 2 shown]
	v_fmac_f32_e32 v28, 0x3dbcf732, v17
	v_fma_f32 v17, v17, s9, -v26
	v_add_f32_e32 v7, v7, v17
	v_add_f32_e32 v17, v103, v19
	;; [unrolled: 1-line block ×6, first 2 shown]
	v_mul_f32_e32 v19, 0xbe3c28d5, v27
	v_add_f32_e32 v17, v20, v17
	v_fma_f32 v20, v11, s14, -v19
	v_fmac_f32_e32 v19, 0xbf7ba420, v11
	v_add_f32_e32 v10, v10, v30
	v_add_f32_e32 v12, v19, v12
	v_mul_f32_e32 v19, 0x3eb8f4ab, v27
	v_add_f32_e32 v10, v32, v10
	v_add_f32_e32 v14, v20, v14
	v_fma_f32 v20, v11, s15, -v19
	v_fmac_f32_e32 v19, 0x3f6eb680, v11
	v_add_f32_e32 v10, v34, v10
	v_add_f32_e32 v16, v19, v16
	v_mul_f32_e32 v19, 0xbf06c442, v27
	v_add_f32_e32 v10, v36, v10
	v_add_f32_e32 v18, v20, v18
	v_mov_b32_e32 v20, v19
	v_mul_f32_e32 v106, 0x3f3d2fb0, v11
	v_mul_f32_e32 v107, 0xbf1a4643, v11
	;; [unrolled: 1-line block ×3, first 2 shown]
	v_add_f32_e32 v10, v38, v10
	v_fmac_f32_e32 v20, 0xbf59a7d5, v11
	v_fma_f32 v11, v11, s8, -v19
	v_add_f32_e32 v10, v40, v10
	v_add_f32_e32 v7, v11, v7
	;; [unrolled: 1-line block ×9, first 2 shown]
	v_lshl_add_u32 v15, v6, 6, v0
	v_add_f32_e32 v20, v20, v22
	v_add_f32_e32 v11, v11, v17
	ds_write2_b32 v15, v10, v12 offset1:1
	ds_write2_b32 v15, v16, v20 offset0:2 offset1:3
	ds_write2_b32 v15, v9, v11 offset0:4 offset1:5
	;; [unrolled: 1-line block ×7, first 2 shown]
	ds_write_b32 v15, v14 offset:64
.LBB0_19:
	s_or_b64 exec, exec, s[6:7]
	v_add_u32_e32 v9, 0x500, v0
	s_waitcnt lgkmcnt(0)
	s_barrier
	ds_read2_b32 v[11:12], v9 offset0:54 offset1:241
	v_add_u32_e32 v9, 0xb00, v0
	ds_read2_b32 v[7:8], v0 offset1:187
	ds_read2_b32 v[9:10], v9 offset0:44 offset1:231
	ds_read_b32 v14, v0 offset:4488
	s_and_saveexec_b64 s[2:3], vcc
	s_cbranch_execz .LBB0_21
; %bb.20:
	v_add_u32_e32 v13, 0x100, v0
	ds_read2_b32 v[53:54], v13 offset0:55 offset1:242
	v_add_u32_e32 v13, 0x700, v0
	ds_read2_b32 v[57:58], v13 offset0:45 offset1:232
	;; [unrolled: 2-line block ×3, first 2 shown]
	ds_read_b32 v13, v0 offset:4964
.LBB0_21:
	s_or_b64 exec, exec, s[2:3]
	s_movk_i32 s2, 0xf1
	v_mul_lo_u16_sdwa v15, v6, s2 dst_sel:DWORD dst_unused:UNUSED_PAD src0_sel:BYTE_0 src1_sel:DWORD
	v_add_u16_e32 v18, 0x77, v6
	v_lshrrev_b16_e32 v41, 12, v15
	v_mul_lo_u16_sdwa v17, v18, s2 dst_sel:DWORD dst_unused:UNUSED_PAD src0_sel:BYTE_0 src1_sel:DWORD
	v_mul_lo_u16_e32 v15, 17, v41
	v_lshrrev_b16_e32 v17, 12, v17
	v_sub_u16_e32 v42, v6, v15
	v_mov_b32_e32 v15, 6
	v_mul_lo_u16_e32 v19, 17, v17
	v_mul_u32_u24_sdwa v16, v42, v15 dst_sel:DWORD dst_unused:UNUSED_PAD src0_sel:BYTE_0 src1_sel:DWORD
	v_sub_u16_e32 v18, v18, v19
	v_lshlrev_b32_e32 v16, 3, v16
	v_mul_u32_u24_sdwa v15, v18, v15 dst_sel:DWORD dst_unused:UNUSED_PAD src0_sel:BYTE_0 src1_sel:DWORD
	global_load_dwordx4 v[27:30], v16, s[12:13]
	global_load_dwordx4 v[37:40], v16, s[12:13] offset:16
	global_load_dwordx4 v[61:64], v16, s[12:13] offset:32
	v_lshlrev_b32_e32 v15, 3, v15
	global_load_dwordx4 v[65:68], v15, s[12:13]
	global_load_dwordx4 v[69:72], v15, s[12:13] offset:16
	global_load_dwordx4 v[73:76], v15, s[12:13] offset:32
	s_mov_b32 s6, 0x3f5ff5aa
	s_mov_b32 s8, 0xbf3bfb3b
	;; [unrolled: 1-line block ×4, first 2 shown]
	s_waitcnt vmcnt(0) lgkmcnt(0)
	s_barrier
	v_mul_f32_e32 v31, v8, v28
	v_mul_f32_e32 v15, v48, v28
	v_mul_f32_e32 v28, v11, v30
	v_mul_f32_e32 v16, v51, v30
	v_mul_f32_e32 v30, v12, v38
	v_mul_f32_e32 v32, v52, v38
	v_mul_f32_e32 v38, v9, v40
	v_mul_f32_e32 v33, v49, v40
	v_mul_f32_e32 v40, v10, v62
	v_mul_f32_e32 v34, v50, v62
	v_mul_f32_e32 v62, v14, v64
	v_mul_f32_e32 v26, v59, v76
	v_fma_f32 v36, v48, v27, -v31
	v_fmac_f32_e32 v15, v8, v27
	v_fma_f32 v8, v51, v29, -v28
	v_fmac_f32_e32 v33, v9, v39
	;; [unrolled: 2-line block ×3, first 2 shown]
	v_fma_f32 v10, v60, v63, -v62
	v_mul_f32_e32 v35, v60, v64
	v_mul_f32_e32 v64, v54, v66
	;; [unrolled: 1-line block ×12, first 2 shown]
	v_fmac_f32_e32 v16, v11, v29
	v_fma_f32 v11, v52, v37, -v30
	v_fmac_f32_e32 v32, v12, v37
	v_fma_f32 v12, v49, v39, -v38
	v_fmac_f32_e32 v26, v13, v75
	v_add_f32_e32 v13, v36, v10
	v_add_f32_e32 v37, v8, v9
	v_fmac_f32_e32 v35, v14, v63
	v_fma_f32 v29, v43, v71, -v70
	v_add_f32_e32 v39, v11, v12
	v_add_f32_e32 v43, v37, v13
	v_fma_f32 v30, v44, v73, -v72
	v_sub_f32_e32 v14, v15, v35
	v_sub_f32_e32 v38, v16, v34
	;; [unrolled: 1-line block ×6, first 2 shown]
	v_add_f32_e32 v39, v39, v43
	v_fma_f32 v27, v45, v67, -v66
	v_fma_f32 v28, v46, v69, -v68
	v_add_f32_e32 v45, v40, v38
	v_sub_f32_e32 v46, v40, v38
	v_sub_f32_e32 v38, v38, v14
	v_add_f32_e32 v47, v47, v39
	v_sub_f32_e32 v40, v14, v40
	v_add_f32_e32 v14, v45, v14
	v_mul_f32_e32 v13, 0x3f4a47b2, v13
	v_mul_f32_e32 v45, 0xbf08b237, v46
	;; [unrolled: 1-line block ×3, first 2 shown]
	v_mov_b32_e32 v48, v47
	v_mul_f32_e32 v43, 0x3d64c772, v37
	v_fmac_f32_e32 v48, 0xbf955555, v39
	v_fma_f32 v39, v44, s8, -v13
	v_fmac_f32_e32 v13, 0x3d64c772, v37
	v_fma_f32 v37, v38, s6, -v45
	;; [unrolled: 2-line block ×3, first 2 shown]
	v_fma_f32 v43, v44, s7, -v43
	v_add_f32_e32 v13, v13, v48
	v_add_f32_e32 v39, v39, v48
	v_fmac_f32_e32 v45, 0x3ee1c552, v14
	v_fmac_f32_e32 v38, 0x3ee1c552, v14
	v_add_f32_e32 v40, v43, v48
	v_fmac_f32_e32 v37, 0x3ee1c552, v14
	v_add_f32_e32 v14, v45, v13
	v_add_f32_e32 v43, v38, v39
	v_sub_f32_e32 v38, v39, v38
	v_sub_f32_e32 v39, v13, v45
	v_mov_b32_e32 v13, 2
	v_sub_f32_e32 v44, v40, v37
	v_add_f32_e32 v40, v37, v40
	v_mul_u32_u24_e32 v37, 0x1dc, v41
	v_lshlrev_b32_sdwa v41, v13, v42 dst_sel:DWORD dst_unused:UNUSED_PAD src0_sel:DWORD src1_sel:BYTE_0
	v_fma_f32 v24, v24, v65, -v64
	v_fmac_f32_e32 v19, v54, v65
	v_fmac_f32_e32 v20, v57, v67
	;; [unrolled: 1-line block ×5, first 2 shown]
	v_fma_f32 v31, v59, v75, -v74
	v_add3_u32 v37, 0, v37, v41
	ds_write2_b32 v37, v47, v14 offset1:17
	ds_write2_b32 v37, v43, v44 offset0:34 offset1:51
	ds_write2_b32 v37, v40, v38 offset0:68 offset1:85
	ds_write_b32 v37, v39 offset:408
	s_and_saveexec_b64 s[2:3], vcc
	s_cbranch_execz .LBB0_23
; %bb.22:
	v_add_f32_e32 v14, v24, v31
	v_add_f32_e32 v38, v28, v29
	v_sub_f32_e32 v39, v14, v38
	v_mul_f32_e32 v39, 0x3f4a47b2, v39
	v_add_f32_e32 v40, v27, v30
	v_sub_f32_e32 v41, v38, v40
	v_mov_b32_e32 v43, v39
	v_mul_f32_e32 v42, 0x3d64c772, v41
	v_fmac_f32_e32 v43, 0x3d64c772, v41
	v_add_f32_e32 v41, v40, v14
	v_add_f32_e32 v38, v38, v41
	;; [unrolled: 1-line block ×3, first 2 shown]
	v_mov_b32_e32 v41, v23
	v_fmac_f32_e32 v41, 0xbf955555, v38
	v_sub_f32_e32 v44, v22, v21
	v_sub_f32_e32 v46, v20, v25
	v_add_f32_e32 v38, v43, v41
	v_sub_f32_e32 v43, v19, v26
	v_sub_f32_e32 v47, v44, v46
	;; [unrolled: 1-line block ×3, first 2 shown]
	v_mul_f32_e32 v47, 0xbf08b237, v47
	v_add_f32_e32 v44, v44, v46
	v_sub_f32_e32 v14, v40, v14
	v_sub_f32_e32 v40, v46, v43
	v_mov_b32_e32 v48, v47
	v_add_f32_e32 v44, v44, v43
	v_fma_f32 v39, v14, s8, -v39
	v_mul_f32_e32 v43, 0x3f5ff5aa, v40
	v_fma_f32 v40, v40, s6, -v47
	v_fma_f32 v14, v14, s7, -v42
	v_fmac_f32_e32 v48, 0x3eae86e6, v45
	v_fmac_f32_e32 v40, 0x3ee1c552, v44
	v_add_f32_e32 v14, v14, v41
	v_fmac_f32_e32 v48, 0x3ee1c552, v44
	v_add_f32_e32 v39, v39, v41
	v_fma_f32 v43, v45, s9, -v43
	v_add_f32_e32 v41, v40, v14
	v_sub_f32_e32 v14, v14, v40
	v_mul_u32_u24_e32 v40, 0x1dc, v17
	v_lshlrev_b32_sdwa v13, v13, v18 dst_sel:DWORD dst_unused:UNUSED_PAD src0_sel:DWORD src1_sel:BYTE_0
	v_sub_f32_e32 v49, v38, v48
	v_fmac_f32_e32 v43, 0x3ee1c552, v44
	v_add_f32_e32 v38, v48, v38
	v_add3_u32 v13, 0, v40, v13
	v_sub_f32_e32 v45, v39, v43
	v_add_f32_e32 v39, v43, v39
	ds_write2_b32 v13, v23, v38 offset1:17
	ds_write2_b32 v13, v39, v14 offset0:34 offset1:51
	ds_write2_b32 v13, v41, v45 offset0:68 offset1:85
	ds_write_b32 v13, v49 offset:408
.LBB0_23:
	s_or_b64 exec, exec, s[2:3]
	v_add_f32_e32 v13, v15, v35
	v_add_f32_e32 v14, v16, v34
	v_sub_f32_e32 v8, v8, v9
	v_add_f32_e32 v9, v32, v33
	v_sub_f32_e32 v11, v12, v11
	;; [unrolled: 2-line block ×3, first 2 shown]
	v_sub_f32_e32 v13, v13, v9
	v_sub_f32_e32 v14, v9, v14
	v_add_f32_e32 v9, v9, v12
	v_sub_f32_e32 v10, v36, v10
	v_sub_f32_e32 v23, v11, v8
	v_add_f32_e32 v32, v7, v9
	v_add_f32_e32 v16, v11, v8
	v_sub_f32_e32 v8, v8, v10
	v_mul_f32_e32 v7, 0x3f4a47b2, v13
	v_mul_f32_e32 v12, 0x3d64c772, v14
	;; [unrolled: 1-line block ×3, first 2 shown]
	v_mov_b32_e32 v23, v32
	v_sub_f32_e32 v11, v10, v11
	v_add_f32_e32 v10, v16, v10
	v_mul_f32_e32 v16, 0x3f5ff5aa, v8
	v_fmac_f32_e32 v23, 0xbf955555, v9
	v_fma_f32 v9, v15, s7, -v12
	v_fma_f32 v8, v8, s6, -v13
	;; [unrolled: 1-line block ×3, first 2 shown]
	v_fmac_f32_e32 v7, 0x3d64c772, v14
	v_fmac_f32_e32 v13, 0x3eae86e6, v11
	v_add_f32_e32 v9, v9, v23
	v_fmac_f32_e32 v8, 0x3ee1c552, v10
	v_fma_f32 v11, v11, s9, -v16
	v_add_f32_e32 v7, v7, v23
	v_fmac_f32_e32 v13, 0x3ee1c552, v10
	v_add_f32_e32 v35, v8, v9
	v_sub_f32_e32 v36, v9, v8
	v_add_u32_e32 v9, 0x200, v0
	v_add_f32_e32 v12, v12, v23
	v_fmac_f32_e32 v11, 0x3ee1c552, v10
	v_sub_f32_e32 v33, v7, v13
	v_add_f32_e32 v39, v13, v7
	s_waitcnt lgkmcnt(0)
	s_barrier
	ds_read2_b32 v[13:14], v9 offset0:110 offset1:229
	v_add_u32_e32 v9, 0x600, v0
	v_sub_f32_e32 v34, v12, v11
	v_add_f32_e32 v38, v11, v12
	ds_read2_b32 v[11:12], v9 offset0:92 offset1:211
	v_add_u32_e32 v9, 0xa00, v0
	v_add_u32_e32 v15, 0xe00, v0
	ds_read2_b32 v[7:8], v0 offset1:119
	ds_read2_b32 v[9:10], v9 offset0:74 offset1:193
	ds_read2_b32 v[15:16], v15 offset0:56 offset1:175
	ds_read_b32 v23, v0 offset:4760
	s_waitcnt lgkmcnt(0)
	s_barrier
	ds_write2_b32 v37, v32, v33 offset1:17
	ds_write2_b32 v37, v34, v35 offset0:34 offset1:51
	ds_write2_b32 v37, v36, v38 offset0:68 offset1:85
	ds_write_b32 v37, v39 offset:408
	s_and_saveexec_b64 s[2:3], vcc
	s_cbranch_execz .LBB0_25
; %bb.24:
	v_add_f32_e32 v19, v19, v26
	v_add_f32_e32 v20, v20, v25
	;; [unrolled: 1-line block ×4, first 2 shown]
	v_sub_f32_e32 v25, v27, v30
	v_sub_f32_e32 v22, v29, v28
	;; [unrolled: 1-line block ×5, first 2 shown]
	v_add_f32_e32 v21, v21, v26
	v_sub_f32_e32 v24, v24, v31
	v_add_f32_e32 v28, v22, v25
	v_add_f32_e32 v26, v53, v21
	v_sub_f32_e32 v29, v22, v25
	v_sub_f32_e32 v22, v24, v22
	;; [unrolled: 1-line block ×3, first 2 shown]
	v_add_f32_e32 v24, v28, v24
	v_mul_f32_e32 v28, 0x3d64c772, v20
	v_mov_b32_e32 v31, v26
	v_mul_f32_e32 v19, 0x3f4a47b2, v19
	v_mul_f32_e32 v29, 0xbf08b237, v29
	v_fmac_f32_e32 v31, 0xbf955555, v21
	v_fma_f32 v21, v27, s7, -v28
	s_mov_b32 s7, 0xbf3bfb3b
	v_mul_f32_e32 v30, 0x3f5ff5aa, v25
	v_fma_f32 v27, v27, s7, -v19
	v_fmac_f32_e32 v19, 0x3d64c772, v20
	v_fma_f32 v20, v25, s6, -v29
	s_mov_b32 s6, 0xbeae86e6
	v_fmac_f32_e32 v29, 0x3eae86e6, v22
	v_fma_f32 v22, v22, s6, -v30
	v_add_f32_e32 v21, v21, v31
	v_add_f32_e32 v25, v27, v31
	v_fmac_f32_e32 v20, 0x3ee1c552, v24
	v_fmac_f32_e32 v22, 0x3ee1c552, v24
	v_sub_f32_e32 v27, v25, v22
	v_add_f32_e32 v28, v20, v21
	v_sub_f32_e32 v20, v21, v20
	v_add_f32_e32 v21, v22, v25
	v_mov_b32_e32 v22, 2
	v_add_f32_e32 v19, v19, v31
	v_fmac_f32_e32 v29, 0x3ee1c552, v24
	v_mul_u32_u24_e32 v17, 0x1dc, v17
	v_lshlrev_b32_sdwa v18, v22, v18 dst_sel:DWORD dst_unused:UNUSED_PAD src0_sel:DWORD src1_sel:BYTE_0
	v_sub_f32_e32 v24, v19, v29
	v_add3_u32 v17, 0, v17, v18
	v_add_f32_e32 v19, v29, v19
	ds_write2_b32 v17, v26, v24 offset1:17
	ds_write2_b32 v17, v27, v28 offset0:34 offset1:51
	ds_write2_b32 v17, v20, v21 offset0:68 offset1:85
	ds_write_b32 v17, v19 offset:408
.LBB0_25:
	s_or_b64 exec, exec, s[2:3]
	s_waitcnt lgkmcnt(0)
	s_barrier
	s_and_saveexec_b64 s[2:3], s[0:1]
	s_cbranch_execz .LBB0_27
; %bb.26:
	v_mul_u32_u24_e32 v6, 10, v6
	v_lshlrev_b32_e32 v6, 3, v6
	global_load_dwordx4 v[17:20], v6, s[12:13] offset:880
	global_load_dwordx4 v[24:27], v6, s[12:13] offset:816
	;; [unrolled: 1-line block ×5, first 2 shown]
	v_add_u32_e32 v40, 0xe00, v0
	v_add_u32_e32 v42, 0x200, v0
	;; [unrolled: 1-line block ×3, first 2 shown]
	v_mul_lo_u32 v48, s5, v4
	v_mul_lo_u32 v49, s4, v5
	v_mad_u64_u32 v[5:6], s[0:1], s4, v4, 0
	ds_read_b32 v4, v0 offset:4760
	ds_read2_b32 v[21:22], v0 offset1:119
	v_add_u32_e32 v0, 0x600, v0
	ds_read2_b32 v[40:41], v40 offset0:56 offset1:175
	ds_read2_b32 v[42:43], v42 offset0:110 offset1:229
	;; [unrolled: 1-line block ×4, first 2 shown]
	v_add3_u32 v6, v6, v49, v48
	s_mov_b32 s0, 0x3ed4b147
	s_mov_b32 s1, 0xbf27a4f4
	;; [unrolled: 1-line block ×5, first 2 shown]
	v_lshlrev_b64 v[5:6], 3, v[5:6]
	v_add_co_u32_e32 v5, vcc, s10, v5
	s_waitcnt vmcnt(4)
	v_mul_f32_e32 v0, v23, v20
	s_waitcnt vmcnt(3)
	v_mul_f32_e32 v48, v8, v25
	v_mul_f32_e32 v49, v16, v18
	;; [unrolled: 1-line block ×3, first 2 shown]
	s_waitcnt vmcnt(2)
	v_mul_f32_e32 v51, v15, v31
	s_waitcnt lgkmcnt(3)
	v_mul_f32_e32 v31, v40, v31
	s_waitcnt vmcnt(1)
	v_mul_f32_e32 v54, v11, v35
	s_waitcnt lgkmcnt(0)
	v_mul_f32_e32 v35, v46, v35
	v_fmac_f32_e32 v0, v4, v19
	v_fmac_f32_e32 v48, v22, v24
	v_mul_f32_e32 v25, v22, v25
	v_mul_f32_e32 v20, v4, v20
	v_mul_f32_e32 v52, v14, v33
	v_fmac_f32_e32 v49, v41, v17
	v_fmac_f32_e32 v50, v42, v26
	v_fmac_f32_e32 v51, v40, v30
	v_fma_f32 v30, v15, v30, -v31
	v_fmac_f32_e32 v54, v46, v34
	v_fma_f32 v31, v11, v34, -v35
	v_add_f32_e32 v34, v0, v48
	v_mul_f32_e32 v27, v42, v27
	v_mul_f32_e32 v18, v41, v18
	;; [unrolled: 1-line block ×4, first 2 shown]
	s_waitcnt vmcnt(0)
	v_mul_f32_e32 v56, v12, v37
	v_mul_f32_e32 v37, v47, v37
	v_fma_f32 v4, v8, v24, -v25
	v_fma_f32 v20, v23, v19, -v20
	v_fmac_f32_e32 v52, v43, v32
	v_add_f32_e32 v35, v49, v50
	v_mul_f32_e32 v24, 0x3ed4b147, v34
	v_mul_f32_e32 v29, v45, v29
	;; [unrolled: 1-line block ×3, first 2 shown]
	v_fma_f32 v41, v13, v26, -v27
	v_fma_f32 v42, v16, v17, -v18
	;; [unrolled: 1-line block ×3, first 2 shown]
	v_fmac_f32_e32 v53, v45, v28
	v_fmac_f32_e32 v56, v47, v36
	v_fma_f32 v33, v12, v36, -v37
	v_sub_f32_e32 v26, v4, v20
	v_add_f32_e32 v36, v51, v52
	v_mul_f32_e32 v25, 0xbf27a4f4, v35
	v_mov_b32_e32 v8, v24
	v_mul_f32_e32 v39, v44, v39
	v_fma_f32 v28, v10, v28, -v29
	v_fmac_f32_e32 v55, v44, v38
	v_sub_f32_e32 v27, v41, v42
	v_add_f32_e32 v37, v53, v54
	v_mul_f32_e32 v44, 0xbf75a155, v36
	v_mov_b32_e32 v10, v25
	v_fmac_f32_e32 v8, 0x3f68dda4, v26
	v_sub_f32_e32 v29, v32, v30
	v_add_f32_e32 v43, v55, v56
	v_mul_f32_e32 v45, 0xbe11bafb, v37
	v_mov_b32_e32 v11, v44
	v_fmac_f32_e32 v10, 0x3f4178ce, v27
	v_add_f32_e32 v8, v21, v8
	v_sub_f32_e32 v40, v31, v28
	v_mul_f32_e32 v46, 0x3f575c64, v43
	v_mov_b32_e32 v12, v45
	v_fmac_f32_e32 v11, 0xbe903f40, v29
	v_add_f32_e32 v8, v8, v10
	v_fma_f32 v38, v9, v38, -v39
	v_fmac_f32_e32 v12, 0xbf7d64f0, v40
	v_add_f32_e32 v8, v8, v11
	v_sub_f32_e32 v39, v33, v38
	v_mov_b32_e32 v9, v46
	v_sub_f32_e32 v57, v48, v0
	v_add_f32_e32 v8, v8, v12
	v_fmac_f32_e32 v9, 0xbf0a6770, v39
	v_mul_f32_e32 v58, 0xbf68dda4, v57
	v_sub_f32_e32 v60, v50, v49
	v_add_f32_e32 v9, v8, v9
	v_add_f32_e32 v47, v20, v4
	v_mov_b32_e32 v8, v58
	v_mul_f32_e32 v61, 0xbf4178ce, v60
	v_fmac_f32_e32 v8, 0x3ed4b147, v47
	v_add_f32_e32 v59, v42, v41
	v_mov_b32_e32 v10, v61
	v_sub_f32_e32 v63, v52, v51
	v_add_f32_e32 v8, v7, v8
	v_fmac_f32_e32 v10, 0xbf27a4f4, v59
	v_mul_f32_e32 v64, 0x3e903f40, v63
	v_add_f32_e32 v8, v8, v10
	v_add_f32_e32 v62, v30, v32
	v_mov_b32_e32 v10, v64
	v_sub_f32_e32 v66, v54, v53
	v_fmac_f32_e32 v10, 0xbf75a155, v62
	v_mul_f32_e32 v67, 0x3f7d64f0, v66
	v_add_f32_e32 v8, v8, v10
	v_add_f32_e32 v65, v28, v31
	v_mov_b32_e32 v10, v67
	v_sub_f32_e32 v69, v56, v55
	v_fmac_f32_e32 v10, 0xbe11bafb, v65
	v_mul_f32_e32 v70, 0x3f0a6770, v69
	v_add_f32_e32 v8, v8, v10
	v_add_f32_e32 v68, v38, v33
	v_mov_b32_e32 v10, v70
	v_fmac_f32_e32 v10, 0x3f575c64, v68
	v_mul_f32_e32 v22, 0xbe11bafb, v34
	v_add_f32_e32 v8, v8, v10
	v_mov_b32_e32 v10, v22
	v_mul_f32_e32 v23, 0xbf75a155, v35
	v_fmac_f32_e32 v10, 0x3f7d64f0, v26
	v_mov_b32_e32 v11, v23
	v_add_f32_e32 v10, v21, v10
	v_fmac_f32_e32 v11, 0xbe903f40, v27
	v_mul_f32_e32 v71, 0x3ed4b147, v36
	v_add_f32_e32 v10, v10, v11
	v_mov_b32_e32 v11, v71
	v_fmac_f32_e32 v11, 0xbf68dda4, v29
	v_mul_f32_e32 v72, 0x3f575c64, v37
	v_add_f32_e32 v10, v10, v11
	v_mov_b32_e32 v11, v72
	v_fmac_f32_e32 v11, 0x3f0a6770, v40
	v_mul_f32_e32 v73, 0xbf27a4f4, v43
	v_add_f32_e32 v10, v10, v11
	v_mov_b32_e32 v11, v73
	v_fmac_f32_e32 v11, 0x3f4178ce, v39
	v_mul_f32_e32 v74, 0xbf7d64f0, v57
	v_add_f32_e32 v11, v10, v11
	v_mov_b32_e32 v10, v74
	v_mul_f32_e32 v75, 0x3e903f40, v60
	v_fmac_f32_e32 v10, 0xbe11bafb, v47
	v_mov_b32_e32 v12, v75
	v_add_f32_e32 v10, v7, v10
	v_fmac_f32_e32 v12, 0xbf75a155, v59
	v_mul_f32_e32 v76, 0x3f68dda4, v63
	v_add_f32_e32 v10, v10, v12
	v_mov_b32_e32 v12, v76
	v_fmac_f32_e32 v12, 0x3ed4b147, v62
	v_mul_f32_e32 v77, 0xbf0a6770, v66
	v_add_f32_e32 v10, v10, v12
	v_mov_b32_e32 v12, v77
	v_fmac_f32_e32 v12, 0x3f575c64, v65
	v_mul_f32_e32 v78, 0xbf4178ce, v69
	;; [unrolled: 20-line block ×3, first 2 shown]
	v_add_f32_e32 v12, v12, v13
	v_mov_b32_e32 v13, v81
	v_fmac_f32_e32 v13, 0xbf68dda4, v39
	v_mul_f32_e32 v82, 0xbf4178ce, v57
	v_add_f32_e32 v13, v12, v13
	v_mov_b32_e32 v12, v82
	v_mul_f32_e32 v83, 0x3f7d64f0, v60
	v_fmac_f32_e32 v24, 0xbf68dda4, v26
	v_fmac_f32_e32 v12, 0xbf27a4f4, v47
	v_mov_b32_e32 v14, v83
	v_add_f32_e32 v24, v21, v24
	v_fmac_f32_e32 v25, 0xbf4178ce, v27
	v_add_f32_e32 v12, v7, v12
	v_fmac_f32_e32 v14, 0xbe11bafb, v59
	v_mul_f32_e32 v84, 0xbf0a6770, v63
	v_add_f32_e32 v24, v24, v25
	v_fmac_f32_e32 v44, 0x3e903f40, v29
	v_add_f32_e32 v12, v12, v14
	v_mov_b32_e32 v14, v84
	v_add_f32_e32 v24, v24, v44
	v_fmac_f32_e32 v45, 0x3f7d64f0, v40
	v_fmac_f32_e32 v14, 0x3f575c64, v62
	v_mul_f32_e32 v85, 0xbe903f40, v66
	v_add_f32_e32 v24, v24, v45
	v_fmac_f32_e32 v46, 0x3f0a6770, v39
	v_add_f32_e32 v12, v12, v14
	v_mov_b32_e32 v14, v85
	v_add_f32_e32 v25, v24, v46
	v_fma_f32 v24, v47, s0, -v58
	v_fmac_f32_e32 v14, 0xbf75a155, v65
	v_mul_f32_e32 v86, 0x3f68dda4, v69
	v_add_f32_e32 v24, v7, v24
	v_fma_f32 v44, v59, s1, -v61
	v_add_f32_e32 v12, v12, v14
	v_mov_b32_e32 v14, v86
	v_add_f32_e32 v24, v24, v44
	v_fma_f32 v44, v62, s2, -v64
	v_fmac_f32_e32 v14, 0x3ed4b147, v68
	v_mul_f32_e32 v16, 0xbf75a155, v34
	v_add_f32_e32 v24, v24, v44
	v_fma_f32 v44, v65, s3, -v67
	v_add_f32_e32 v12, v12, v14
	v_mov_b32_e32 v14, v16
	v_mul_f32_e32 v17, 0x3f575c64, v35
	v_add_f32_e32 v24, v24, v44
	v_fma_f32 v44, v68, s4, -v70
	v_fmac_f32_e32 v14, 0x3e903f40, v26
	v_mov_b32_e32 v15, v17
	v_add_f32_e32 v24, v24, v44
	v_mul_f32_e32 v44, 0xbf0a6770, v26
	v_add_f32_e32 v14, v21, v14
	v_fmac_f32_e32 v15, 0xbf0a6770, v27
	v_mul_f32_e32 v87, 0xbf27a4f4, v36
	v_fmac_f32_e32 v16, 0xbe903f40, v26
	v_fmac_f32_e32 v18, 0xbf4178ce, v26
	;; [unrolled: 1-line block ×3, first 2 shown]
	v_mov_b32_e32 v26, v44
	v_mul_f32_e32 v45, 0xbf68dda4, v27
	v_add_f32_e32 v14, v14, v15
	v_mov_b32_e32 v15, v87
	v_fmac_f32_e32 v17, 0x3f0a6770, v27
	v_fmac_f32_e32 v19, 0x3f7d64f0, v27
	;; [unrolled: 1-line block ×4, first 2 shown]
	v_mov_b32_e32 v27, v45
	v_fmac_f32_e32 v15, 0x3f4178ce, v29
	v_mul_f32_e32 v88, 0x3ed4b147, v37
	v_add_f32_e32 v26, v21, v26
	v_fmac_f32_e32 v27, 0x3ed4b147, v35
	v_mul_f32_e32 v46, 0xbf7d64f0, v29
	v_add_f32_e32 v14, v14, v15
	v_mov_b32_e32 v15, v88
	v_add_f32_e32 v26, v26, v27
	v_mov_b32_e32 v27, v46
	v_fmac_f32_e32 v15, 0xbf68dda4, v40
	v_mul_f32_e32 v89, 0xbe11bafb, v43
	v_fmac_f32_e32 v88, 0x3f68dda4, v40
	v_fmac_f32_e32 v80, 0xbe903f40, v40
	;; [unrolled: 1-line block ×4, first 2 shown]
	v_mul_f32_e32 v40, 0xbf4178ce, v40
	v_add_f32_e32 v14, v14, v15
	v_mov_b32_e32 v15, v89
	v_add_f32_e32 v26, v26, v27
	v_mov_b32_e32 v27, v40
	v_fmac_f32_e32 v15, 0x3f7d64f0, v39
	v_fmac_f32_e32 v89, 0xbf7d64f0, v39
	;; [unrolled: 1-line block ×5, first 2 shown]
	v_mul_f32_e32 v39, 0xbe903f40, v39
	v_add_f32_e32 v26, v26, v27
	v_mov_b32_e32 v27, v39
	v_mul_f32_e32 v90, 0xbe903f40, v57
	v_fmac_f32_e32 v27, 0xbf75a155, v43
	v_mul_f32_e32 v57, 0xbf0a6770, v57
	v_add_f32_e32 v15, v14, v15
	v_mov_b32_e32 v14, v90
	v_mul_f32_e32 v91, 0x3f0a6770, v60
	v_add_f32_e32 v27, v26, v27
	v_fma_f32 v26, v47, s4, -v57
	v_mul_f32_e32 v58, 0xbf68dda4, v60
	v_fmac_f32_e32 v14, 0xbf75a155, v47
	v_mov_b32_e32 v92, v91
	v_fmac_f32_e32 v87, 0xbf4178ce, v29
	v_fmac_f32_e32 v79, 0xbf0a6770, v29
	;; [unrolled: 1-line block ×3, first 2 shown]
	v_add_f32_e32 v26, v7, v26
	v_fma_f32 v29, v59, s0, -v58
	v_mul_f32_e32 v60, 0xbf7d64f0, v63
	v_add_f32_e32 v14, v7, v14
	v_fmac_f32_e32 v92, 0x3f575c64, v59
	v_add_f32_e32 v26, v26, v29
	v_fma_f32 v29, v62, s3, -v60
	v_mul_f32_e32 v61, 0xbf4178ce, v66
	v_add_f32_e32 v14, v14, v92
	v_mul_f32_e32 v92, 0xbf4178ce, v63
	v_add_f32_e32 v26, v26, v29
	v_fma_f32 v29, v65, s1, -v61
	v_mul_f32_e32 v63, 0xbe903f40, v69
	v_add_f32_e32 v26, v26, v29
	v_fma_f32 v29, v68, s2, -v63
	v_add_f32_e32 v26, v26, v29
	v_add_f32_e32 v29, v21, v48
	;; [unrolled: 1-line block ×21, first 2 shown]
	v_fma_f32 v0, v34, s4, -v44
	v_add_f32_e32 v0, v21, v0
	v_fma_f32 v4, v35, s0, -v45
	v_add_f32_e32 v0, v0, v4
	;; [unrolled: 2-line block ×4, first 2 shown]
	v_fma_f32 v4, v43, s2, -v39
	v_fmac_f32_e32 v57, 0x3f575c64, v47
	v_add_f32_e32 v16, v21, v16
	v_add_f32_e32 v18, v21, v18
	;; [unrolled: 1-line block ×5, first 2 shown]
	v_fmac_f32_e32 v58, 0x3ed4b147, v59
	v_add_f32_e32 v0, v0, v58
	v_fmac_f32_e32 v60, 0xbe11bafb, v62
	v_add_f32_e32 v0, v0, v60
	;; [unrolled: 2-line block ×4, first 2 shown]
	v_add_f32_e32 v20, v0, v63
	v_mov_b32_e32 v0, s11
	v_add_f32_e32 v16, v16, v17
	v_add_f32_e32 v18, v18, v79
	v_addc_co_u32_e32 v6, vcc, v0, v6, vcc
	v_lshlrev_b64 v[0:1], 3, v[1:2]
	v_add_f32_e32 v16, v16, v87
	v_add_f32_e32 v18, v18, v80
	;; [unrolled: 1-line block ×5, first 2 shown]
	v_fma_f32 v18, v47, s1, -v82
	v_add_f32_e32 v22, v22, v71
	v_mov_b32_e32 v4, 0
	v_add_co_u32_e32 v2, vcc, v5, v0
	v_mov_b32_e32 v93, v92
	v_add_f32_e32 v17, v16, v89
	v_fma_f32 v16, v47, s2, -v90
	v_add_f32_e32 v18, v7, v18
	v_fma_f32 v79, v59, s3, -v83
	v_add_f32_e32 v22, v22, v72
	v_addc_co_u32_e32 v5, vcc, v6, v1, vcc
	v_lshlrev_b64 v[0:1], 3, v[3:4]
	v_fmac_f32_e32 v93, 0xbf27a4f4, v62
	v_add_f32_e32 v16, v7, v16
	v_fma_f32 v87, v59, s4, -v91
	v_add_f32_e32 v18, v18, v79
	v_fma_f32 v79, v62, s4, -v84
	;; [unrolled: 2-line block ×3, first 2 shown]
	v_add_f32_e32 v14, v14, v93
	v_mul_f32_e32 v93, 0x3f68dda4, v66
	v_add_f32_e32 v16, v16, v87
	v_fma_f32 v87, v62, s1, -v92
	v_add_f32_e32 v18, v18, v79
	v_fma_f32 v79, v65, s2, -v85
	;; [unrolled: 2-line block ×3, first 2 shown]
	v_add_co_u32_e32 v0, vcc, v2, v0
	v_mov_b32_e32 v94, v93
	v_add_f32_e32 v16, v16, v87
	v_fma_f32 v87, v65, s0, -v93
	v_add_f32_e32 v18, v18, v79
	v_fma_f32 v79, v68, s0, -v86
	;; [unrolled: 2-line block ×3, first 2 shown]
	v_addc_co_u32_e32 v1, vcc, v5, v1, vcc
	s_movk_i32 s0, 0x1000
	v_fmac_f32_e32 v94, 0x3ed4b147, v65
	v_add_f32_e32 v22, v22, v71
	v_fma_f32 v71, v65, s4, -v77
	v_add_co_u32_e32 v2, vcc, s0, v0
	v_add_f32_e32 v14, v14, v94
	v_mul_f32_e32 v94, 0xbf7d64f0, v69
	v_add_f32_e32 v22, v22, v71
	v_fma_f32 v71, v68, s1, -v78
	v_addc_co_u32_e32 v3, vcc, 0, v1, vcc
	v_mov_b32_e32 v95, v94
	v_add_f32_e32 v16, v16, v87
	v_fma_f32 v87, v68, s3, -v94
	v_add_f32_e32 v18, v18, v79
	v_add_f32_e32 v22, v22, v71
	global_store_dwordx2 v[0:1], v[28:29], off
	global_store_dwordx2 v[0:1], v[26:27], off offset:952
	global_store_dwordx2 v[0:1], v[24:25], off offset:1904
	;; [unrolled: 1-line block ×4, first 2 shown]
	v_add_co_u32_e32 v0, vcc, 0x2000, v0
	v_fmac_f32_e32 v95, 0xbe11bafb, v68
	v_add_f32_e32 v16, v16, v87
	v_addc_co_u32_e32 v1, vcc, 0, v1, vcc
	v_add_f32_e32 v14, v14, v95
	global_store_dwordx2 v[2:3], v[16:17], off offset:664
	global_store_dwordx2 v[2:3], v[14:15], off offset:1616
	;; [unrolled: 1-line block ×6, first 2 shown]
.LBB0_27:
	s_endpgm
	.section	.rodata,"a",@progbits
	.p2align	6, 0x0
	.amdhsa_kernel fft_rtc_fwd_len1309_factors_17_7_11_wgs_119_tpt_119_halfLds_sp_op_CI_CI_unitstride_sbrr_dirReg
		.amdhsa_group_segment_fixed_size 0
		.amdhsa_private_segment_fixed_size 0
		.amdhsa_kernarg_size 104
		.amdhsa_user_sgpr_count 6
		.amdhsa_user_sgpr_private_segment_buffer 1
		.amdhsa_user_sgpr_dispatch_ptr 0
		.amdhsa_user_sgpr_queue_ptr 0
		.amdhsa_user_sgpr_kernarg_segment_ptr 1
		.amdhsa_user_sgpr_dispatch_id 0
		.amdhsa_user_sgpr_flat_scratch_init 0
		.amdhsa_user_sgpr_private_segment_size 0
		.amdhsa_uses_dynamic_stack 0
		.amdhsa_system_sgpr_private_segment_wavefront_offset 0
		.amdhsa_system_sgpr_workgroup_id_x 1
		.amdhsa_system_sgpr_workgroup_id_y 0
		.amdhsa_system_sgpr_workgroup_id_z 0
		.amdhsa_system_sgpr_workgroup_info 0
		.amdhsa_system_vgpr_workitem_id 0
		.amdhsa_next_free_vgpr 111
		.amdhsa_next_free_sgpr 28
		.amdhsa_reserve_vcc 1
		.amdhsa_reserve_flat_scratch 0
		.amdhsa_float_round_mode_32 0
		.amdhsa_float_round_mode_16_64 0
		.amdhsa_float_denorm_mode_32 3
		.amdhsa_float_denorm_mode_16_64 3
		.amdhsa_dx10_clamp 1
		.amdhsa_ieee_mode 1
		.amdhsa_fp16_overflow 0
		.amdhsa_exception_fp_ieee_invalid_op 0
		.amdhsa_exception_fp_denorm_src 0
		.amdhsa_exception_fp_ieee_div_zero 0
		.amdhsa_exception_fp_ieee_overflow 0
		.amdhsa_exception_fp_ieee_underflow 0
		.amdhsa_exception_fp_ieee_inexact 0
		.amdhsa_exception_int_div_zero 0
	.end_amdhsa_kernel
	.text
.Lfunc_end0:
	.size	fft_rtc_fwd_len1309_factors_17_7_11_wgs_119_tpt_119_halfLds_sp_op_CI_CI_unitstride_sbrr_dirReg, .Lfunc_end0-fft_rtc_fwd_len1309_factors_17_7_11_wgs_119_tpt_119_halfLds_sp_op_CI_CI_unitstride_sbrr_dirReg
                                        ; -- End function
	.section	.AMDGPU.csdata,"",@progbits
; Kernel info:
; codeLenInByte = 11172
; NumSgprs: 32
; NumVgprs: 111
; ScratchSize: 0
; MemoryBound: 0
; FloatMode: 240
; IeeeMode: 1
; LDSByteSize: 0 bytes/workgroup (compile time only)
; SGPRBlocks: 3
; VGPRBlocks: 27
; NumSGPRsForWavesPerEU: 32
; NumVGPRsForWavesPerEU: 111
; Occupancy: 2
; WaveLimiterHint : 1
; COMPUTE_PGM_RSRC2:SCRATCH_EN: 0
; COMPUTE_PGM_RSRC2:USER_SGPR: 6
; COMPUTE_PGM_RSRC2:TRAP_HANDLER: 0
; COMPUTE_PGM_RSRC2:TGID_X_EN: 1
; COMPUTE_PGM_RSRC2:TGID_Y_EN: 0
; COMPUTE_PGM_RSRC2:TGID_Z_EN: 0
; COMPUTE_PGM_RSRC2:TIDIG_COMP_CNT: 0
	.type	__hip_cuid_a361249af9734dc6,@object ; @__hip_cuid_a361249af9734dc6
	.section	.bss,"aw",@nobits
	.globl	__hip_cuid_a361249af9734dc6
__hip_cuid_a361249af9734dc6:
	.byte	0                               ; 0x0
	.size	__hip_cuid_a361249af9734dc6, 1

	.ident	"AMD clang version 19.0.0git (https://github.com/RadeonOpenCompute/llvm-project roc-6.4.0 25133 c7fe45cf4b819c5991fe208aaa96edf142730f1d)"
	.section	".note.GNU-stack","",@progbits
	.addrsig
	.addrsig_sym __hip_cuid_a361249af9734dc6
	.amdgpu_metadata
---
amdhsa.kernels:
  - .args:
      - .actual_access:  read_only
        .address_space:  global
        .offset:         0
        .size:           8
        .value_kind:     global_buffer
      - .offset:         8
        .size:           8
        .value_kind:     by_value
      - .actual_access:  read_only
        .address_space:  global
        .offset:         16
        .size:           8
        .value_kind:     global_buffer
      - .actual_access:  read_only
        .address_space:  global
        .offset:         24
        .size:           8
        .value_kind:     global_buffer
      - .actual_access:  read_only
        .address_space:  global
        .offset:         32
        .size:           8
        .value_kind:     global_buffer
      - .offset:         40
        .size:           8
        .value_kind:     by_value
      - .actual_access:  read_only
        .address_space:  global
        .offset:         48
        .size:           8
        .value_kind:     global_buffer
      - .actual_access:  read_only
        .address_space:  global
        .offset:         56
        .size:           8
        .value_kind:     global_buffer
      - .offset:         64
        .size:           4
        .value_kind:     by_value
      - .actual_access:  read_only
        .address_space:  global
        .offset:         72
        .size:           8
        .value_kind:     global_buffer
      - .actual_access:  read_only
        .address_space:  global
        .offset:         80
        .size:           8
        .value_kind:     global_buffer
      - .actual_access:  read_only
        .address_space:  global
        .offset:         88
        .size:           8
        .value_kind:     global_buffer
      - .actual_access:  write_only
        .address_space:  global
        .offset:         96
        .size:           8
        .value_kind:     global_buffer
    .group_segment_fixed_size: 0
    .kernarg_segment_align: 8
    .kernarg_segment_size: 104
    .language:       OpenCL C
    .language_version:
      - 2
      - 0
    .max_flat_workgroup_size: 119
    .name:           fft_rtc_fwd_len1309_factors_17_7_11_wgs_119_tpt_119_halfLds_sp_op_CI_CI_unitstride_sbrr_dirReg
    .private_segment_fixed_size: 0
    .sgpr_count:     32
    .sgpr_spill_count: 0
    .symbol:         fft_rtc_fwd_len1309_factors_17_7_11_wgs_119_tpt_119_halfLds_sp_op_CI_CI_unitstride_sbrr_dirReg.kd
    .uniform_work_group_size: 1
    .uses_dynamic_stack: false
    .vgpr_count:     111
    .vgpr_spill_count: 0
    .wavefront_size: 64
amdhsa.target:   amdgcn-amd-amdhsa--gfx906
amdhsa.version:
  - 1
  - 2
...

	.end_amdgpu_metadata
